;; amdgpu-corpus repo=ROCm/rocFFT kind=compiled arch=gfx906 opt=O3
	.text
	.amdgcn_target "amdgcn-amd-amdhsa--gfx906"
	.amdhsa_code_object_version 6
	.protected	fft_rtc_fwd_len272_factors_16_17_wgs_119_tpt_17_halfLds_dp_ip_CI_sbrr_dirReg ; -- Begin function fft_rtc_fwd_len272_factors_16_17_wgs_119_tpt_17_halfLds_dp_ip_CI_sbrr_dirReg
	.globl	fft_rtc_fwd_len272_factors_16_17_wgs_119_tpt_17_halfLds_dp_ip_CI_sbrr_dirReg
	.p2align	8
	.type	fft_rtc_fwd_len272_factors_16_17_wgs_119_tpt_17_halfLds_dp_ip_CI_sbrr_dirReg,@function
fft_rtc_fwd_len272_factors_16_17_wgs_119_tpt_17_halfLds_dp_ip_CI_sbrr_dirReg: ; @fft_rtc_fwd_len272_factors_16_17_wgs_119_tpt_17_halfLds_dp_ip_CI_sbrr_dirReg
; %bb.0:
	s_load_dwordx2 s[14:15], s[4:5], 0x18
	s_load_dwordx4 s[8:11], s[4:5], 0x0
	s_load_dwordx2 s[12:13], s[4:5], 0x50
	v_mul_u32_u24_e32 v1, 0xf10, v0
	v_lshrrev_b32_e32 v1, 16, v1
	s_waitcnt lgkmcnt(0)
	s_load_dwordx2 s[2:3], s[14:15], 0x0
	v_mad_u64_u32 v[1:2], s[0:1], s6, 7, v[1:2]
	v_mov_b32_e32 v5, 0
	v_cmp_lt_u64_e64 s[0:1], s[10:11], 2
	v_mov_b32_e32 v2, v5
	v_mov_b32_e32 v3, 0
	;; [unrolled: 1-line block ×3, first 2 shown]
	s_and_b64 vcc, exec, s[0:1]
	v_mov_b32_e32 v4, 0
	v_mov_b32_e32 v9, v1
	s_cbranch_vccnz .LBB0_8
; %bb.1:
	s_load_dwordx2 s[0:1], s[4:5], 0x10
	s_add_u32 s6, s14, 8
	s_addc_u32 s7, s15, 0
	v_mov_b32_e32 v3, 0
	v_mov_b32_e32 v8, v2
	s_waitcnt lgkmcnt(0)
	s_add_u32 s18, s0, 8
	s_mov_b64 s[16:17], 1
	v_mov_b32_e32 v4, 0
	s_addc_u32 s19, s1, 0
	v_mov_b32_e32 v7, v1
.LBB0_2:                                ; =>This Inner Loop Header: Depth=1
	s_load_dwordx2 s[20:21], s[18:19], 0x0
                                        ; implicit-def: $vgpr9_vgpr10
	s_waitcnt lgkmcnt(0)
	v_or_b32_e32 v6, s21, v8
	v_cmp_ne_u64_e32 vcc, 0, v[5:6]
	s_and_saveexec_b64 s[0:1], vcc
	s_xor_b64 s[22:23], exec, s[0:1]
	s_cbranch_execz .LBB0_4
; %bb.3:                                ;   in Loop: Header=BB0_2 Depth=1
	v_cvt_f32_u32_e32 v2, s20
	v_cvt_f32_u32_e32 v6, s21
	s_sub_u32 s0, 0, s20
	s_subb_u32 s1, 0, s21
	v_mac_f32_e32 v2, 0x4f800000, v6
	v_rcp_f32_e32 v2, v2
	v_mul_f32_e32 v2, 0x5f7ffffc, v2
	v_mul_f32_e32 v6, 0x2f800000, v2
	v_trunc_f32_e32 v6, v6
	v_mac_f32_e32 v2, 0xcf800000, v6
	v_cvt_u32_f32_e32 v6, v6
	v_cvt_u32_f32_e32 v2, v2
	v_mul_lo_u32 v9, s0, v6
	v_mul_hi_u32 v10, s0, v2
	v_mul_lo_u32 v12, s1, v2
	v_mul_lo_u32 v11, s0, v2
	v_add_u32_e32 v9, v10, v9
	v_add_u32_e32 v9, v9, v12
	v_mul_hi_u32 v10, v2, v11
	v_mul_lo_u32 v12, v2, v9
	v_mul_hi_u32 v14, v2, v9
	v_mul_hi_u32 v13, v6, v11
	v_mul_lo_u32 v11, v6, v11
	v_mul_hi_u32 v15, v6, v9
	v_add_co_u32_e32 v10, vcc, v10, v12
	v_addc_co_u32_e32 v12, vcc, 0, v14, vcc
	v_mul_lo_u32 v9, v6, v9
	v_add_co_u32_e32 v10, vcc, v10, v11
	v_addc_co_u32_e32 v10, vcc, v12, v13, vcc
	v_addc_co_u32_e32 v11, vcc, 0, v15, vcc
	v_add_co_u32_e32 v9, vcc, v10, v9
	v_addc_co_u32_e32 v10, vcc, 0, v11, vcc
	v_add_co_u32_e32 v2, vcc, v2, v9
	v_addc_co_u32_e32 v6, vcc, v6, v10, vcc
	v_mul_lo_u32 v9, s0, v6
	v_mul_hi_u32 v10, s0, v2
	v_mul_lo_u32 v11, s1, v2
	v_mul_lo_u32 v12, s0, v2
	v_add_u32_e32 v9, v10, v9
	v_add_u32_e32 v9, v9, v11
	v_mul_lo_u32 v13, v2, v9
	v_mul_hi_u32 v14, v2, v12
	v_mul_hi_u32 v15, v2, v9
	;; [unrolled: 1-line block ×3, first 2 shown]
	v_mul_lo_u32 v12, v6, v12
	v_mul_hi_u32 v10, v6, v9
	v_add_co_u32_e32 v13, vcc, v14, v13
	v_addc_co_u32_e32 v14, vcc, 0, v15, vcc
	v_mul_lo_u32 v9, v6, v9
	v_add_co_u32_e32 v12, vcc, v13, v12
	v_addc_co_u32_e32 v11, vcc, v14, v11, vcc
	v_addc_co_u32_e32 v10, vcc, 0, v10, vcc
	v_add_co_u32_e32 v9, vcc, v11, v9
	v_addc_co_u32_e32 v10, vcc, 0, v10, vcc
	v_add_co_u32_e32 v2, vcc, v2, v9
	v_addc_co_u32_e32 v6, vcc, v6, v10, vcc
	v_mad_u64_u32 v[9:10], s[0:1], v7, v6, 0
	v_mul_hi_u32 v11, v7, v2
	v_add_co_u32_e32 v13, vcc, v11, v9
	v_addc_co_u32_e32 v14, vcc, 0, v10, vcc
	v_mad_u64_u32 v[9:10], s[0:1], v8, v2, 0
	v_mad_u64_u32 v[11:12], s[0:1], v8, v6, 0
	v_add_co_u32_e32 v2, vcc, v13, v9
	v_addc_co_u32_e32 v2, vcc, v14, v10, vcc
	v_addc_co_u32_e32 v6, vcc, 0, v12, vcc
	v_add_co_u32_e32 v2, vcc, v2, v11
	v_addc_co_u32_e32 v6, vcc, 0, v6, vcc
	v_mul_lo_u32 v11, s21, v2
	v_mul_lo_u32 v12, s20, v6
	v_mad_u64_u32 v[9:10], s[0:1], s20, v2, 0
	v_add3_u32 v10, v10, v12, v11
	v_sub_u32_e32 v11, v8, v10
	v_mov_b32_e32 v12, s21
	v_sub_co_u32_e32 v9, vcc, v7, v9
	v_subb_co_u32_e64 v11, s[0:1], v11, v12, vcc
	v_subrev_co_u32_e64 v12, s[0:1], s20, v9
	v_subbrev_co_u32_e64 v11, s[0:1], 0, v11, s[0:1]
	v_cmp_le_u32_e64 s[0:1], s21, v11
	v_cndmask_b32_e64 v13, 0, -1, s[0:1]
	v_cmp_le_u32_e64 s[0:1], s20, v12
	v_cndmask_b32_e64 v12, 0, -1, s[0:1]
	v_cmp_eq_u32_e64 s[0:1], s21, v11
	v_cndmask_b32_e64 v11, v13, v12, s[0:1]
	v_add_co_u32_e64 v12, s[0:1], 2, v2
	v_addc_co_u32_e64 v13, s[0:1], 0, v6, s[0:1]
	v_add_co_u32_e64 v14, s[0:1], 1, v2
	v_addc_co_u32_e64 v15, s[0:1], 0, v6, s[0:1]
	v_subb_co_u32_e32 v10, vcc, v8, v10, vcc
	v_cmp_ne_u32_e64 s[0:1], 0, v11
	v_cmp_le_u32_e32 vcc, s21, v10
	v_cndmask_b32_e64 v11, v15, v13, s[0:1]
	v_cndmask_b32_e64 v13, 0, -1, vcc
	v_cmp_le_u32_e32 vcc, s20, v9
	v_cndmask_b32_e64 v9, 0, -1, vcc
	v_cmp_eq_u32_e32 vcc, s21, v10
	v_cndmask_b32_e32 v9, v13, v9, vcc
	v_cmp_ne_u32_e32 vcc, 0, v9
	v_cndmask_b32_e32 v10, v6, v11, vcc
	v_cndmask_b32_e64 v6, v14, v12, s[0:1]
	v_cndmask_b32_e32 v9, v2, v6, vcc
.LBB0_4:                                ;   in Loop: Header=BB0_2 Depth=1
	s_andn2_saveexec_b64 s[0:1], s[22:23]
	s_cbranch_execz .LBB0_6
; %bb.5:                                ;   in Loop: Header=BB0_2 Depth=1
	v_cvt_f32_u32_e32 v2, s20
	s_sub_i32 s22, 0, s20
	v_rcp_iflag_f32_e32 v2, v2
	v_mul_f32_e32 v2, 0x4f7ffffe, v2
	v_cvt_u32_f32_e32 v2, v2
	v_mul_lo_u32 v6, s22, v2
	v_mul_hi_u32 v6, v2, v6
	v_add_u32_e32 v2, v2, v6
	v_mul_hi_u32 v2, v7, v2
	v_mul_lo_u32 v6, v2, s20
	v_add_u32_e32 v9, 1, v2
	v_sub_u32_e32 v6, v7, v6
	v_subrev_u32_e32 v10, s20, v6
	v_cmp_le_u32_e32 vcc, s20, v6
	v_cndmask_b32_e32 v6, v6, v10, vcc
	v_cndmask_b32_e32 v2, v2, v9, vcc
	v_add_u32_e32 v9, 1, v2
	v_cmp_le_u32_e32 vcc, s20, v6
	v_cndmask_b32_e32 v9, v2, v9, vcc
	v_mov_b32_e32 v10, v5
.LBB0_6:                                ;   in Loop: Header=BB0_2 Depth=1
	s_or_b64 exec, exec, s[0:1]
	v_mul_lo_u32 v2, v10, s20
	v_mul_lo_u32 v6, v9, s21
	v_mad_u64_u32 v[11:12], s[0:1], v9, s20, 0
	s_load_dwordx2 s[0:1], s[6:7], 0x0
	s_add_u32 s16, s16, 1
	v_add3_u32 v2, v12, v6, v2
	v_sub_co_u32_e32 v6, vcc, v7, v11
	v_subb_co_u32_e32 v2, vcc, v8, v2, vcc
	s_waitcnt lgkmcnt(0)
	v_mul_lo_u32 v2, s0, v2
	v_mul_lo_u32 v7, s1, v6
	v_mad_u64_u32 v[3:4], s[0:1], s0, v6, v[3:4]
	s_addc_u32 s17, s17, 0
	s_add_u32 s6, s6, 8
	v_add3_u32 v4, v7, v4, v2
	v_mov_b32_e32 v6, s10
	v_mov_b32_e32 v7, s11
	s_addc_u32 s7, s7, 0
	v_cmp_ge_u64_e32 vcc, s[16:17], v[6:7]
	s_add_u32 s18, s18, 8
	s_addc_u32 s19, s19, 0
	s_cbranch_vccnz .LBB0_8
; %bb.7:                                ;   in Loop: Header=BB0_2 Depth=1
	v_mov_b32_e32 v7, v9
	v_mov_b32_e32 v8, v10
	s_branch .LBB0_2
.LBB0_8:
	s_lshl_b64 s[0:1], s[10:11], 3
	s_add_u32 s0, s14, s0
	s_addc_u32 s1, s15, s1
	s_load_dwordx2 s[6:7], s[0:1], 0x0
	s_load_dwordx2 s[10:11], s[4:5], 0x20
                                        ; implicit-def: $vgpr16_vgpr17
                                        ; implicit-def: $vgpr24_vgpr25
                                        ; implicit-def: $vgpr20_vgpr21
                                        ; implicit-def: $vgpr12_vgpr13
                                        ; implicit-def: $vgpr40_vgpr41
                                        ; implicit-def: $vgpr52_vgpr53
                                        ; implicit-def: $vgpr28_vgpr29
                                        ; implicit-def: $vgpr56_vgpr57
                                        ; implicit-def: $vgpr32_vgpr33
                                        ; implicit-def: $vgpr64_vgpr65
                                        ; implicit-def: $vgpr60_vgpr61
                                        ; implicit-def: $vgpr48_vgpr49
                                        ; implicit-def: $vgpr36_vgpr37
                                        ; implicit-def: $vgpr44_vgpr45
	s_waitcnt lgkmcnt(0)
	v_mad_u64_u32 v[2:3], s[0:1], s6, v9, v[3:4]
	v_mul_lo_u32 v5, s6, v10
	v_mul_lo_u32 v6, s7, v9
	s_mov_b32 s0, 0xf0f0f10
	v_mul_hi_u32 v4, v0, s0
	v_cmp_gt_u64_e32 vcc, s[10:11], v[9:10]
	v_add3_u32 v3, v6, v3, v5
	v_lshlrev_b64 v[94:95], 4, v[2:3]
	v_mul_u32_u24_e32 v4, 17, v4
	v_sub_u32_e32 v184, v0, v4
                                        ; implicit-def: $vgpr8_vgpr9
                                        ; implicit-def: $vgpr4_vgpr5
	s_and_saveexec_b64 s[4:5], vcc
	s_cbranch_execz .LBB0_10
; %bb.9:
	v_mad_u64_u32 v[2:3], s[0:1], s2, v184, 0
	v_add_u32_e32 v7, 17, v184
	v_mov_b32_e32 v6, s13
	v_mov_b32_e32 v0, v3
	v_mad_u64_u32 v[3:4], s[0:1], s3, v184, v[0:1]
	v_mad_u64_u32 v[4:5], s[0:1], s2, v7, 0
	v_add_co_u32_e64 v10, s[0:1], s12, v94
	v_mov_b32_e32 v0, v5
	v_addc_co_u32_e64 v11, s[0:1], v6, v95, s[0:1]
	v_mad_u64_u32 v[5:6], s[0:1], s3, v7, v[0:1]
	v_add_u32_e32 v8, 34, v184
	v_mad_u64_u32 v[6:7], s[0:1], s2, v8, 0
	v_lshlrev_b64 v[2:3], 4, v[2:3]
	v_add_co_u32_e64 v58, s[0:1], v10, v2
	v_mov_b32_e32 v0, v7
	v_addc_co_u32_e64 v59, s[0:1], v11, v3, s[0:1]
	v_lshlrev_b64 v[2:3], 4, v[4:5]
	v_mad_u64_u32 v[4:5], s[0:1], s3, v8, v[0:1]
	v_add_u32_e32 v5, 51, v184
	v_mad_u64_u32 v[8:9], s[0:1], s2, v5, 0
	v_add_co_u32_e64 v60, s[0:1], v10, v2
	v_mov_b32_e32 v7, v4
	v_mov_b32_e32 v0, v9
	v_addc_co_u32_e64 v61, s[0:1], v11, v3, s[0:1]
	v_lshlrev_b64 v[2:3], 4, v[6:7]
	v_mad_u64_u32 v[4:5], s[0:1], s3, v5, v[0:1]
	v_add_u32_e32 v7, 0x44, v184
	v_mad_u64_u32 v[5:6], s[0:1], s2, v7, 0
	v_add_co_u32_e64 v66, s[0:1], v10, v2
	v_mov_b32_e32 v0, v6
	v_addc_co_u32_e64 v67, s[0:1], v11, v3, s[0:1]
	v_mov_b32_e32 v9, v4
	v_mad_u64_u32 v[6:7], s[0:1], s3, v7, v[0:1]
	v_add_u32_e32 v4, 0x55, v184
	v_lshlrev_b64 v[2:3], 4, v[8:9]
	v_mad_u64_u32 v[7:8], s[0:1], s2, v4, 0
	v_add_co_u32_e64 v68, s[0:1], v10, v2
	v_mov_b32_e32 v0, v8
	v_addc_co_u32_e64 v69, s[0:1], v11, v3, s[0:1]
	v_lshlrev_b64 v[2:3], 4, v[5:6]
	v_mad_u64_u32 v[4:5], s[0:1], s3, v4, v[0:1]
	v_add_u32_e32 v9, 0x66, v184
	v_mad_u64_u32 v[5:6], s[0:1], s2, v9, 0
	v_add_co_u32_e64 v70, s[0:1], v10, v2
	v_mov_b32_e32 v8, v4
	v_mov_b32_e32 v0, v6
	v_addc_co_u32_e64 v71, s[0:1], v11, v3, s[0:1]
	v_lshlrev_b64 v[2:3], 4, v[7:8]
	v_mad_u64_u32 v[6:7], s[0:1], s3, v9, v[0:1]
	v_add_u32_e32 v4, 0x77, v184
	v_mad_u64_u32 v[7:8], s[0:1], s2, v4, 0
	v_add_co_u32_e64 v72, s[0:1], v10, v2
	v_mov_b32_e32 v0, v8
	v_addc_co_u32_e64 v73, s[0:1], v11, v3, s[0:1]
	v_lshlrev_b64 v[2:3], 4, v[5:6]
	v_mad_u64_u32 v[4:5], s[0:1], s3, v4, v[0:1]
	v_add_u32_e32 v9, 0x88, v184
	v_mad_u64_u32 v[5:6], s[0:1], s2, v9, 0
	v_add_co_u32_e64 v74, s[0:1], v10, v2
	v_mov_b32_e32 v8, v4
	v_mov_b32_e32 v0, v6
	v_addc_co_u32_e64 v75, s[0:1], v11, v3, s[0:1]
	v_lshlrev_b64 v[2:3], 4, v[7:8]
	v_mad_u64_u32 v[6:7], s[0:1], s3, v9, v[0:1]
	v_add_u32_e32 v4, 0x99, v184
	;; [unrolled: 15-line block ×5, first 2 shown]
	v_mad_u64_u32 v[7:8], s[0:1], s2, v4, 0
	v_add_co_u32_e64 v88, s[0:1], v10, v2
	v_mov_b32_e32 v0, v8
	v_addc_co_u32_e64 v89, s[0:1], v11, v3, s[0:1]
	v_lshlrev_b64 v[2:3], 4, v[5:6]
	v_mad_u64_u32 v[4:5], s[0:1], s3, v4, v[0:1]
	v_add_co_u32_e64 v90, s[0:1], v10, v2
	v_mov_b32_e32 v8, v4
	v_addc_co_u32_e64 v91, s[0:1], v11, v3, s[0:1]
	v_lshlrev_b64 v[2:3], 4, v[7:8]
	v_add_co_u32_e64 v92, s[0:1], v10, v2
	v_addc_co_u32_e64 v93, s[0:1], v11, v3, s[0:1]
	global_load_dwordx4 v[42:45], v[58:59], off
	global_load_dwordx4 v[14:17], v[60:61], off
	;; [unrolled: 1-line block ×15, first 2 shown]
                                        ; kill: killed $vgpr80 killed $vgpr81
                                        ; kill: killed $vgpr60 killed $vgpr61
                                        ; kill: killed $vgpr82 killed $vgpr83
                                        ; kill: killed $vgpr66 killed $vgpr67
                                        ; kill: killed $vgpr84 killed $vgpr85
                                        ; kill: killed $vgpr68 killed $vgpr69
                                        ; kill: killed $vgpr86 killed $vgpr87
                                        ; kill: killed $vgpr70 killed $vgpr71
                                        ; kill: killed $vgpr88 killed $vgpr89
                                        ; kill: killed $vgpr72 killed $vgpr73
                                        ; kill: killed $vgpr90 killed $vgpr91
                                        ; kill: killed $vgpr74 killed $vgpr75
                                        ; kill: killed $vgpr76 killed $vgpr77
                                        ; kill: killed $vgpr78 killed $vgpr79
                                        ; kill: killed $vgpr58 killed $vgpr59
	global_load_dwordx4 v[58:61], v[92:93], off
.LBB0_10:
	s_or_b64 exec, exec, s[4:5]
	s_waitcnt vmcnt(7)
	v_add_f64 v[38:39], v[42:43], -v[38:39]
	s_waitcnt vmcnt(5)
	v_add_f64 v[52:53], v[24:25], -v[52:53]
	;; [unrolled: 2-line block ×3, first 2 shown]
	v_add_f64 v[66:67], v[22:23], -v[50:51]
	s_waitcnt vmcnt(1)
	v_add_f64 v[62:63], v[34:35], -v[62:63]
	v_add_f64 v[50:51], v[4:5], -v[56:57]
	v_add_f64 v[56:57], v[36:37], -v[64:65]
	v_add_f64 v[32:33], v[20:21], -v[32:33]
	v_fma_f64 v[64:65], v[42:43], 2.0, -v[38:39]
	v_fma_f64 v[42:43], v[24:25], 2.0, -v[52:53]
	v_add_f64 v[24:25], v[14:15], -v[46:47]
	v_add_f64 v[46:47], v[16:17], -v[48:49]
	;; [unrolled: 1-line block ×3, first 2 shown]
	s_waitcnt vmcnt(0)
	v_add_f64 v[48:49], v[12:13], -v[60:61]
	v_fma_f64 v[2:3], v[2:3], 2.0, -v[54:55]
	v_fma_f64 v[22:23], v[22:23], 2.0, -v[66:67]
	;; [unrolled: 1-line block ×3, first 2 shown]
	v_add_f64 v[30:31], v[18:19], -v[30:31]
	v_add_f64 v[28:29], v[8:9], -v[28:29]
	;; [unrolled: 1-line block ×3, first 2 shown]
	v_fma_f64 v[20:21], v[20:21], 2.0, -v[32:33]
	v_add_f64 v[70:71], v[38:39], -v[50:51]
	v_add_f64 v[32:33], v[24:25], -v[32:33]
	;; [unrolled: 1-line block ×4, first 2 shown]
	v_fma_f64 v[14:15], v[14:15], 2.0, -v[24:25]
	v_fma_f64 v[18:19], v[18:19], 2.0, -v[30:31]
	;; [unrolled: 1-line block ×4, first 2 shown]
	v_add_f64 v[30:31], v[30:31], v[46:47]
	v_add_f64 v[58:59], v[28:29], v[58:59]
	v_add_f64 v[2:3], v[64:65], -v[2:3]
	v_fma_f64 v[38:39], v[38:39], 2.0, -v[70:71]
	v_fma_f64 v[24:25], v[24:25], 2.0, -v[32:33]
	;; [unrolled: 1-line block ×3, first 2 shown]
	v_add_f64 v[76:77], v[52:53], v[62:63]
	v_fma_f64 v[78:79], v[66:67], 2.0, -v[74:75]
	v_add_f64 v[60:61], v[22:23], -v[34:35]
	s_mov_b32 s0, 0x667f3bcd
	s_mov_b32 s1, 0x3fe6a09e
	;; [unrolled: 1-line block ×4, first 2 shown]
	v_fma_f64 v[36:37], v[36:37], 2.0, -v[56:57]
	v_fma_f64 v[16:17], v[16:17], 2.0, -v[46:47]
	;; [unrolled: 1-line block ×4, first 2 shown]
	v_add_f64 v[18:19], v[14:15], -v[18:19]
	v_add_f64 v[10:11], v[6:7], -v[10:11]
	v_fma_f64 v[34:35], v[26:27], s[16:17], v[24:25]
	v_fma_f64 v[84:85], v[52:53], 2.0, -v[76:77]
	v_fma_f64 v[52:53], v[78:79], s[16:17], v[38:39]
	v_fma_f64 v[64:65], v[64:65], 2.0, -v[2:3]
	v_fma_f64 v[22:23], v[22:23], 2.0, -v[60:61]
	v_fma_f64 v[68:69], v[72:73], s[0:1], v[32:33]
	v_fma_f64 v[28:29], v[8:9], 2.0, -v[28:29]
	;; [unrolled: 3-line block ×3, first 2 shown]
	v_fma_f64 v[66:67], v[6:7], 2.0, -v[10:11]
	v_fma_f64 v[82:83], v[84:85], s[16:17], v[52:53]
	v_fma_f64 v[6:7], v[46:47], s[16:17], v[34:35]
	v_add_f64 v[34:35], v[64:65], -v[22:23]
	v_fma_f64 v[52:53], v[58:59], s[16:17], v[68:69]
	v_add_f64 v[68:69], v[42:43], -v[36:37]
	v_add_f64 v[22:23], v[28:29], -v[8:9]
	v_fma_f64 v[8:9], v[74:75], s[0:1], v[70:71]
	v_fma_f64 v[46:47], v[26:27], s[0:1], v[56:57]
	v_add_f64 v[48:49], v[14:15], -v[66:67]
	v_fma_f64 v[12:13], v[58:59], s[0:1], v[30:31]
	v_fma_f64 v[26:27], v[38:39], 2.0, -v[82:83]
	v_add_f64 v[20:21], v[16:17], -v[20:21]
	v_add_f64 v[36:37], v[2:3], -v[68:69]
	;; [unrolled: 1-line block ×3, first 2 shown]
	v_fma_f64 v[86:87], v[76:77], s[16:17], v[8:9]
	v_fma_f64 v[56:57], v[24:25], 2.0, -v[6:7]
	v_fma_f64 v[24:25], v[64:65], 2.0, -v[34:35]
	;; [unrolled: 1-line block ×4, first 2 shown]
	v_fma_f64 v[64:65], v[72:73], s[0:1], v[12:13]
	v_fma_f64 v[72:73], v[2:3], 2.0, -v[36:37]
	v_add_f64 v[90:91], v[10:11], v[20:21]
	v_fma_f64 v[92:93], v[18:19], 2.0, -v[38:39]
	v_fma_f64 v[18:19], v[70:71], 2.0, -v[86:87]
	;; [unrolled: 1-line block ×5, first 2 shown]
	s_mov_b32 s10, 0x24924925
	v_mul_hi_u32 v0, v1, s10
	s_mov_b32 s4, 0xcf328d46
	s_mov_b32 s6, 0xa6aea964
	;; [unrolled: 1-line block ×3, first 2 shown]
	v_sub_u32_e32 v16, v1, v0
	s_mov_b32 s7, 0xbfd87de2
	v_lshrrev_b32_e32 v16, 1, v16
	s_mov_b32 s11, 0x3fed906b
	s_mov_b32 s10, s4
	;; [unrolled: 1-line block ×4, first 2 shown]
	v_fma_f64 v[12:13], v[56:57], s[4:5], v[26:27]
	v_add_f64 v[8:9], v[24:25], -v[14:15]
	v_fma_f64 v[66:67], v[30:31], 2.0, -v[64:65]
	v_fma_f64 v[96:97], v[20:21], 2.0, -v[90:91]
	v_fma_f64 v[2:3], v[92:93], s[16:17], v[72:73]
	v_fma_f64 v[14:15], v[62:63], s[6:7], v[18:19]
	v_add_u32_e32 v0, v16, v0
	v_add_f64 v[80:81], v[70:71], -v[10:11]
	v_fma_f64 v[16:17], v[6:7], s[14:15], v[82:83]
	v_fma_f64 v[28:29], v[38:39], s[0:1], v[36:37]
	;; [unrolled: 1-line block ×6, first 2 shown]
	v_lshrrev_b32_e32 v0, 2, v0
	v_add_f64 v[20:21], v[34:35], -v[80:81]
	v_fma_f64 v[22:23], v[46:47], s[4:5], v[16:17]
	v_fma_f64 v[28:29], v[90:91], s[16:17], v[28:29]
	;; [unrolled: 1-line block ×3, first 2 shown]
	v_mul_lo_u32 v0, v0, 7
	v_fma_f64 v[2:3], v[26:27], 2.0, -v[10:11]
	v_fma_f64 v[26:27], v[18:19], 2.0, -v[14:15]
	v_sub_u32_e32 v88, v1, v0
	v_fma_f64 v[0:1], v[24:25], 2.0, -v[8:9]
	v_fma_f64 v[24:25], v[72:73], 2.0, -v[12:13]
	;; [unrolled: 1-line block ×6, first 2 shown]
	v_mul_u32_u24_e32 v37, 0x110, v88
	v_mul_f64 v[82:83], v[78:79], s[0:1]
	v_mul_f64 v[86:87], v[84:85], s[0:1]
	;; [unrolled: 1-line block ×8, first 2 shown]
	v_lshl_add_u32 v36, v184, 7, 0
	v_lshl_add_u32 v90, v37, 3, v36
	v_cmp_gt_u32_e64 s[0:1], 16, v184
	v_lshlrev_b32_e32 v91, 3, v37
	v_lshlrev_b32_e32 v92, 3, v184
	ds_write_b128 v90, v[0:3]
	ds_write_b128 v90, v[24:27] offset:16
	ds_write_b128 v90, v[32:35] offset:32
	ds_write_b128 v90, v[16:19] offset:48
	ds_write_b128 v90, v[8:11] offset:64
	ds_write_b128 v90, v[12:15] offset:80
	ds_write_b128 v90, v[20:23] offset:96
	ds_write_b128 v90, v[28:31] offset:112
	s_waitcnt lgkmcnt(0)
	s_barrier
	s_waitcnt lgkmcnt(0)
                                        ; implicit-def: $vgpr38_vgpr39
	s_and_saveexec_b64 s[16:17], s[0:1]
	s_cbranch_execz .LBB0_12
; %bb.11:
	v_mul_i32_i24_e32 v2, 0xffffff88, v184
	v_add3_u32 v0, 0, v91, v92
	v_add3_u32 v2, v36, v2, v91
	ds_read_b64 v[0:1], v0
	ds_read2_b64 v[8:11], v2 offset0:16 offset1:32
	ds_read2_b64 v[12:15], v2 offset0:48 offset1:64
	;; [unrolled: 1-line block ×7, first 2 shown]
	v_add_u32_e32 v2, 0x400, v2
	ds_read2_b64 v[36:39], v2 offset0:112 offset1:128
	s_waitcnt lgkmcnt(7)
	v_mov_b32_e32 v2, v8
	v_mov_b32_e32 v3, v9
	s_waitcnt lgkmcnt(6)
	v_mov_b32_e32 v33, v15
	s_waitcnt lgkmcnt(4)
	v_mov_b32_e32 v8, v20
	v_mov_b32_e32 v25, v11
	;; [unrolled: 1-line block ×5, first 2 shown]
	s_waitcnt lgkmcnt(2)
	v_mov_b32_e32 v14, v28
	v_mov_b32_e32 v20, v30
	v_mov_b32_e32 v24, v10
	v_mov_b32_e32 v26, v12
	v_mov_b32_e32 v34, v96
	v_mov_b32_e32 v12, v102
	v_mov_b32_e32 v15, v29
	v_mov_b32_e32 v21, v31
	s_waitcnt lgkmcnt(1)
	v_mov_b32_e32 v22, v104
	v_mov_b32_e32 v28, v106
	s_waitcnt lgkmcnt(0)
	v_mov_b32_e32 v30, v36
	v_mov_b32_e32 v10, v100
	;; [unrolled: 1-line block ×10, first 2 shown]
.LBB0_12:
	s_or_b64 exec, exec, s[16:17]
	v_add_f64 v[36:37], v[44:45], -v[40:41]
	v_fma_f64 v[4:5], v[4:5], 2.0, -v[50:51]
	v_fma_f64 v[42:43], v[42:43], 2.0, -v[68:69]
	;; [unrolled: 1-line block ×3, first 2 shown]
	s_barrier
	v_add_f64 v[40:41], v[54:55], v[36:37]
	v_fma_f64 v[44:45], v[44:45], 2.0, -v[36:37]
	v_fma_f64 v[36:37], v[36:37], 2.0, -v[40:41]
	v_add_f64 v[4:5], v[44:45], -v[4:5]
	v_add_f64 v[50:51], v[40:41], v[88:89]
	v_add_f64 v[54:55], v[36:37], -v[86:87]
	v_add_f64 v[60:61], v[60:61], v[4:5]
	v_add_f64 v[84:85], v[84:85], v[50:51]
	v_fma_f64 v[44:45], v[44:45], 2.0, -v[4:5]
	v_add_f64 v[82:83], v[82:83], v[54:55]
	v_fma_f64 v[4:5], v[4:5], 2.0, -v[60:61]
	v_fma_f64 v[70:71], v[40:41], 2.0, -v[84:85]
	v_add_f64 v[80:81], v[44:45], -v[42:43]
	v_add_f64 v[40:41], v[78:79], v[60:61]
	v_fma_f64 v[42:43], v[64:65], s[10:11], v[84:85]
	v_fma_f64 v[36:37], v[36:37], 2.0, -v[82:83]
	v_add_f64 v[50:51], v[4:5], -v[76:77]
	v_fma_f64 v[54:55], v[66:67], s[6:7], v[70:71]
	v_fma_f64 v[64:65], v[46:47], s[14:15], v[82:83]
	v_fma_f64 v[76:77], v[44:45], 2.0, -v[80:81]
	v_add_f64 v[44:45], v[74:75], v[40:41]
	v_fma_f64 v[46:47], v[52:53], s[14:15], v[42:43]
	v_add_f64 v[48:49], v[48:49], v[80:81]
	v_fma_f64 v[58:59], v[58:59], s[4:5], v[36:37]
	;; [unrolled: 2-line block ×3, first 2 shown]
	v_fma_f64 v[50:51], v[6:7], s[10:11], v[64:65]
	v_add_f64 v[40:41], v[76:77], -v[68:69]
	v_fma_f64 v[64:65], v[60:61], 2.0, -v[44:45]
	v_fma_f64 v[66:67], v[84:85], 2.0, -v[46:47]
	;; [unrolled: 1-line block ×3, first 2 shown]
	v_fma_f64 v[42:43], v[56:57], s[14:15], v[58:59]
	v_fma_f64 v[56:57], v[4:5], 2.0, -v[52:53]
	v_fma_f64 v[58:59], v[70:71], 2.0, -v[54:55]
	;; [unrolled: 1-line block ×4, first 2 shown]
                                        ; implicit-def: $vgpr72_vgpr73
	v_fma_f64 v[6:7], v[36:37], 2.0, -v[42:43]
	ds_write_b128 v90, v[44:47] offset:112
	ds_write_b128 v90, v[64:67] offset:48
	;; [unrolled: 1-line block ×7, first 2 shown]
	ds_write_b128 v90, v[4:7]
	s_waitcnt lgkmcnt(0)
	s_barrier
	s_and_saveexec_b64 s[4:5], s[0:1]
	s_cbranch_execnz .LBB0_15
; %bb.13:
	s_or_b64 exec, exec, s[4:5]
	s_and_b64 s[0:1], vcc, s[0:1]
	s_and_saveexec_b64 s[4:5], s[0:1]
	s_cbranch_execnz .LBB0_16
.LBB0_14:
	s_endpgm
.LBB0_15:
	v_add3_u32 v4, 0, v91, v92
	v_add3_u32 v6, 0, v92, v91
	ds_read_b64 v[4:5], v4
	ds_read2_b64 v[60:63], v6 offset0:16 offset1:32
	ds_read2_b64 v[56:59], v6 offset0:48 offset1:64
	;; [unrolled: 1-line block ×7, first 2 shown]
	v_add_u32_e32 v6, 0x400, v6
	ds_read2_b64 v[70:73], v6 offset0:112 offset1:128
	s_waitcnt lgkmcnt(4)
	v_mov_b32_e32 v67, v41
	s_waitcnt lgkmcnt(2)
	v_mov_b32_e32 v49, v47
	v_mov_b32_e32 v69, v59
	;; [unrolled: 1-line block ×6, first 2 shown]
	s_waitcnt lgkmcnt(0)
	v_mov_b32_e32 v46, v70
	v_mov_b32_e32 v68, v58
	;; [unrolled: 1-line block ×23, first 2 shown]
	s_or_b64 exec, exec, s[4:5]
	s_and_b64 s[0:1], vcc, s[0:1]
	s_and_saveexec_b64 s[4:5], s[0:1]
	s_cbranch_execz .LBB0_14
.LBB0_16:
	v_lshlrev_b32_e32 v36, 4, v184
	v_mov_b32_e32 v37, 0
	v_lshlrev_b64 v[36:37], 4, v[36:37]
	v_mov_b32_e32 v60, s9
	v_add_co_u32_e32 v36, vcc, s8, v36
	v_addc_co_u32_e32 v37, vcc, v60, v37, vcc
	global_load_dwordx4 v[60:63], v[36:37], off offset:112
	global_load_dwordx4 v[82:85], v[36:37], off offset:96
	;; [unrolled: 1-line block ×9, first 2 shown]
	global_load_dwordx4 v[110:113], v[36:37], off
	global_load_dwordx4 v[114:117], v[36:37], off offset:32
	global_load_dwordx4 v[118:121], v[36:37], off offset:208
	;; [unrolled: 1-line block ×6, first 2 shown]
	s_mov_b32 s0, 0x7faef3
	s_mov_b32 s1, 0xbfef7484
	s_mov_b32 s14, 0x370991
	s_mov_b32 s8, 0xacd6c6b4
	s_mov_b32 s15, 0x3fedd6d0
	s_mov_b32 s9, 0x3fc7851a
	s_mov_b32 s4, 0x910ea3b9
	s_mov_b32 s18, 0x5d8e7cdc
	s_mov_b32 s5, 0xbfeb34fa
	s_mov_b32 s19, 0xbfd71e95
	s_mov_b32 s7, 0xbfc7851a
	s_mov_b32 s6, s8
	s_mov_b32 s24, 0x4363dd80
	s_mov_b32 s22, 0x75d4884
	s_mov_b32 s21, 0x3fd71e95
	s_mov_b32 s25, 0x3fe0d888
	s_mov_b32 s23, 0x3fe7a5f6
	s_mov_b32 s20, s18
	s_mov_b32 s28, 0x2a9d6da3
	s_mov_b32 s16, 0x6ed5f1bb
	s_mov_b32 s11, 0xbfe0d888
	s_mov_b32 s29, 0xbfe58eea
	s_mov_b32 s17, 0xbfe348c8
	s_mov_b32 s10, s24
	s_mov_b32 s30, 0x6c9a05f6
	s_mov_b32 s26, 0x2b2883cd
	s_mov_b32 s31, 0x3fe9895b
	s_mov_b32 s27, 0x3fdc86fa
	s_mov_b32 s41, 0x3fe58eea
	s_mov_b32 s40, s28
	s_mov_b32 s38, 0x7c9e640b
	s_mov_b32 s36, 0xc61f0d01
	s_mov_b32 s39, 0xbfeca52d
	s_mov_b32 s35, 0xbfe9895b
	s_mov_b32 s34, s30
	s_mov_b32 s37, 0xbfd183b1
	s_mov_b32 s48, 0x923c349f
	s_mov_b32 s51, 0x3feca52d
	s_mov_b32 s50, s38
	s_mov_b32 s49, 0x3feec746
	s_mov_b32 s43, 0xbfeec746
	s_mov_b32 s42, s48
	s_mov_b32 s44, 0x3259b75e
	s_mov_b32 s46, 0xeb564b22
	s_mov_b32 s45, 0x3fb79ee6
	s_mov_b32 s47, 0xbfefdd0d
	s_mov_b32 s53, 0x3fefdd0d
	s_mov_b32 s52, s46
	s_waitcnt vmcnt(15)
	v_mul_f64 v[36:37], v[40:41], v[60:61]
	s_waitcnt vmcnt(14)
	v_mul_f64 v[104:105], v[66:67], v[82:83]
	v_mul_f64 v[132:133], v[66:67], v[84:85]
	s_waitcnt vmcnt(13)
	v_mul_f64 v[66:67], v[64:65], v[86:87]
	;; [unrolled: 3-line block ×3, first 2 shown]
	s_waitcnt vmcnt(9)
	v_mul_f64 v[136:137], v[68:69], v[96:97]
	v_mul_f64 v[68:69], v[68:69], v[98:99]
	s_waitcnt vmcnt(7)
	v_mul_f64 v[162:163], v[50:51], v[106:107]
	s_waitcnt vmcnt(6)
	v_mul_f64 v[152:153], v[6:7], v[110:111]
	v_mul_f64 v[6:7], v[6:7], v[112:113]
	;; [unrolled: 1-line block ×3, first 2 shown]
	s_waitcnt vmcnt(3)
	v_mul_f64 v[156:157], v[72:73], v[128:129]
	v_mul_f64 v[50:51], v[58:59], v[114:115]
	s_waitcnt vmcnt(2)
	v_mul_f64 v[168:169], v[56:57], v[142:143]
	s_waitcnt vmcnt(1)
	v_mul_f64 v[172:173], v[46:47], v[146:147]
	v_mul_f64 v[178:179], v[72:73], v[130:131]
	;; [unrolled: 1-line block ×3, first 2 shown]
	v_fma_f64 v[174:175], v[2:3], v[112:113], v[152:153]
	v_mul_f64 v[166:167], v[44:45], v[118:119]
	v_fma_f64 v[58:59], v[38:39], v[130:131], v[156:157]
	v_mul_f64 v[56:57], v[56:57], v[144:145]
	v_mul_f64 v[46:47], v[46:47], v[148:149]
	v_fma_f64 v[122:123], v[16:17], v[88:89], v[66:67]
	v_fma_f64 v[176:177], v[2:3], v[110:111], -v[6:7]
	v_fma_f64 v[156:157], v[26:27], v[116:117], v[50:51]
	v_fma_f64 v[170:171], v[24:25], v[144:145], v[168:169]
	;; [unrolled: 1-line block ×3, first 2 shown]
	v_fma_f64 v[2:3], v[38:39], v[128:129], -v[178:179]
	v_add_f64 v[50:51], v[174:175], v[58:59]
	v_mul_f64 v[124:125], v[70:71], v[90:91]
	v_mul_f64 v[70:71], v[70:71], v[92:93]
	;; [unrolled: 1-line block ×5, first 2 shown]
	v_fma_f64 v[104:105], v[18:19], v[84:85], v[104:105]
	v_fma_f64 v[84:85], v[14:15], v[80:81], v[64:65]
	;; [unrolled: 1-line block ×3, first 2 shown]
	v_fma_f64 v[136:137], v[32:33], v[96:97], -v[68:69]
	v_fma_f64 v[68:69], v[28:29], v[120:121], v[166:167]
	v_fma_f64 v[168:169], v[24:25], v[142:143], -v[56:57]
	v_fma_f64 v[64:65], v[30:31], v[146:147], -v[46:47]
	v_add_f64 v[182:183], v[170:171], v[66:67]
	v_add_f64 v[148:149], v[176:177], -v[2:3]
	v_mul_f64 v[6:7], v[50:51], s[0:1]
	v_mul_f64 v[54:55], v[54:55], v[80:81]
	v_fma_f64 v[126:127], v[34:35], v[90:91], -v[70:71]
	v_fma_f64 v[80:81], v[20:21], v[102:103], v[150:151]
	v_fma_f64 v[72:73], v[20:21], v[100:101], -v[48:49]
	v_fma_f64 v[152:153], v[26:27], v[114:115], -v[180:181]
	;; [unrolled: 1-line block ×3, first 2 shown]
	v_fma_f64 v[90:91], v[22:23], v[108:109], v[162:163]
	v_fma_f64 v[88:89], v[22:23], v[106:107], -v[164:165]
	v_add_f64 v[150:151], v[174:175], -v[58:59]
	v_add_f64 v[180:181], v[156:157], v[68:69]
	v_add_f64 v[112:113], v[168:169], -v[64:65]
	v_mul_f64 v[20:21], v[182:183], s[14:15]
	v_fma_f64 v[22:23], v[148:149], s[8:9], v[6:7]
	v_fma_f64 v[134:135], v[34:35], v[92:93], v[124:125]
	v_add_f64 v[124:125], v[170:171], -v[66:67]
	v_add_f64 v[128:129], v[176:177], v[2:3]
	v_add_f64 v[100:101], v[152:153], -v[70:71]
	v_add_f64 v[172:173], v[140:141], v[90:91]
	v_mul_f64 v[24:25], v[150:151], s[6:7]
	v_mul_f64 v[26:27], v[180:181], s[4:5]
	v_fma_f64 v[28:29], v[112:113], s[18:19], v[20:21]
	v_add_f64 v[22:23], v[4:5], v[22:23]
	v_mul_f64 v[154:155], v[52:53], v[74:75]
	v_add_f64 v[96:97], v[168:169], v[64:65]
	v_add_f64 v[120:121], v[156:157], -v[68:69]
	v_add_f64 v[98:99], v[136:137], -v[88:89]
	v_add_f64 v[164:165], v[134:135], v[80:81]
	v_mul_f64 v[30:31], v[124:125], s[20:21]
	v_mul_f64 v[32:33], v[172:173], s[22:23]
	v_fma_f64 v[34:35], v[128:129], s[0:1], v[24:25]
	v_fma_f64 v[38:39], v[100:101], s[24:25], v[26:27]
	v_add_f64 v[22:23], v[28:29], v[22:23]
	v_mul_f64 v[52:53], v[52:53], v[76:77]
	v_add_f64 v[102:103], v[152:153], v[70:71]
	v_add_f64 v[92:93], v[126:127], -v[72:73]
	v_mul_f64 v[28:29], v[120:121], s[10:11]
	v_mul_f64 v[44:45], v[164:165], s[16:17]
	v_fma_f64 v[46:47], v[96:97], s[14:15], v[30:31]
	v_fma_f64 v[48:49], v[98:99], s[28:29], v[32:33]
	v_add_f64 v[34:35], v[0:1], v[34:35]
	v_add_f64 v[22:23], v[38:39], v[22:23]
	v_fma_f64 v[142:143], v[16:17], v[86:87], -v[138:139]
	v_add_f64 v[166:167], v[122:123], v[84:85]
	v_add_f64 v[118:119], v[140:141], -v[90:91]
	v_fma_f64 v[78:79], v[14:15], v[78:79], -v[54:55]
	v_fma_f64 v[114:115], v[12:13], v[76:77], v[154:155]
	v_fma_f64 v[130:131], v[18:19], v[82:83], -v[132:133]
	v_fma_f64 v[16:17], v[102:103], s[4:5], v[28:29]
	v_fma_f64 v[18:19], v[92:93], s[30:31], v[44:45]
	v_add_f64 v[34:35], v[46:47], v[34:35]
	v_add_f64 v[22:23], v[48:49], v[22:23]
	v_fma_f64 v[108:109], v[12:13], v[74:75], -v[52:53]
	v_add_f64 v[106:107], v[136:137], v[88:89]
	v_mul_f64 v[12:13], v[166:167], s[26:27]
	v_mul_f64 v[14:15], v[118:119], s[40:41]
	v_add_f64 v[74:75], v[142:143], -v[78:79]
	v_add_f64 v[116:117], v[134:135], -v[80:81]
	v_add_f64 v[154:155], v[104:105], v[114:115]
	v_add_f64 v[16:17], v[16:17], v[34:35]
	v_add_f64 v[18:19], v[18:19], v[22:23]
	v_add_f64 v[82:83], v[126:127], v[72:73]
	v_add_f64 v[110:111], v[122:123], -v[84:85]
	v_fma_f64 v[22:23], v[106:107], s[22:23], v[14:15]
	v_fma_f64 v[38:39], v[74:75], s[38:39], v[12:13]
	v_mul_f64 v[34:35], v[116:117], s[34:35]
	v_mul_f64 v[46:47], v[154:155], s[36:37]
	v_add_f64 v[76:77], v[130:131], -v[108:109]
	v_mul_f64 v[40:41], v[40:41], v[62:63]
	v_add_f64 v[86:87], v[142:143], v[78:79]
	v_mul_f64 v[48:49], v[110:111], s[50:51]
	v_add_f64 v[16:17], v[22:23], v[16:17]
	s_waitcnt vmcnt(0)
	v_mul_f64 v[52:53], v[42:43], v[158:159]
	v_fma_f64 v[22:23], v[82:83], s[16:17], v[34:35]
	v_add_f64 v[18:19], v[38:39], v[18:19]
	v_fma_f64 v[38:39], v[76:77], s[48:49], v[46:47]
	v_mul_f64 v[42:43], v[42:43], v[160:161]
	v_fma_f64 v[162:163], v[8:9], v[62:63], v[36:37]
	v_add_f64 v[62:63], v[104:105], -v[114:115]
	v_fma_f64 v[6:7], v[148:149], s[6:7], v[6:7]
	v_fma_f64 v[144:145], v[10:11], v[160:161], v[52:53]
	v_add_f64 v[16:17], v[22:23], v[16:17]
	v_fma_f64 v[22:23], v[86:87], s[26:27], v[48:49]
	v_fma_f64 v[160:161], v[8:9], v[60:61], -v[40:41]
	v_add_f64 v[8:9], v[38:39], v[18:19]
	v_fma_f64 v[18:19], v[128:129], s[0:1], -v[24:25]
	v_fma_f64 v[146:147], v[10:11], v[158:159], -v[42:43]
	v_add_f64 v[60:61], v[130:131], v[108:109]
	v_add_f64 v[132:133], v[162:163], v[144:145]
	v_fma_f64 v[20:21], v[112:113], s[20:21], v[20:21]
	v_add_f64 v[10:11], v[22:23], v[16:17]
	v_mul_f64 v[16:17], v[62:63], s[42:43]
	v_add_f64 v[6:7], v[4:5], v[6:7]
	v_fma_f64 v[24:25], v[96:97], s[14:15], -v[30:31]
	v_add_f64 v[18:19], v[0:1], v[18:19]
	v_add_f64 v[158:159], v[162:163], -v[144:145]
	v_mul_f64 v[22:23], v[132:133], s[44:45]
	v_add_f64 v[138:139], v[160:161], -v[146:147]
	v_add_f64 v[178:179], v[160:161], v[146:147]
	v_fma_f64 v[30:31], v[60:61], s[36:37], v[16:17]
	v_add_f64 v[6:7], v[20:21], v[6:7]
	v_fma_f64 v[20:21], v[100:101], s[10:11], v[26:27]
	v_add_f64 v[18:19], v[24:25], v[18:19]
	v_fma_f64 v[24:25], v[102:103], s[4:5], -v[28:29]
	v_mul_f64 v[26:27], v[50:51], s[4:5]
	v_mul_f64 v[28:29], v[158:159], s[52:53]
	v_fma_f64 v[36:37], v[138:139], s[46:47], v[22:23]
	v_fma_f64 v[14:15], v[106:107], s[22:23], -v[14:15]
	v_add_f64 v[10:11], v[30:31], v[10:11]
	v_add_f64 v[6:7], v[20:21], v[6:7]
	v_fma_f64 v[20:21], v[98:99], s[40:41], v[32:33]
	v_add_f64 v[18:19], v[24:25], v[18:19]
	v_fma_f64 v[24:25], v[148:149], s[24:25], v[26:27]
	v_mul_f64 v[30:31], v[182:183], s[26:27]
	v_fma_f64 v[32:33], v[178:179], s[44:45], v[28:29]
	v_add_f64 v[8:9], v[36:37], v[8:9]
	v_fma_f64 v[36:37], v[92:93], s[34:35], v[44:45]
	v_mul_f64 v[38:39], v[180:181], s[44:45]
	v_add_f64 v[20:21], v[20:21], v[6:7]
	v_add_f64 v[14:15], v[14:15], v[18:19]
	v_fma_f64 v[18:19], v[82:83], s[16:17], -v[34:35]
	v_add_f64 v[24:25], v[4:5], v[24:25]
	v_fma_f64 v[34:35], v[112:113], s[38:39], v[30:31]
	v_add_f64 v[6:7], v[32:33], v[10:11]
	v_mul_f64 v[32:33], v[150:151], s[10:11]
	v_fma_f64 v[12:13], v[74:75], s[50:51], v[12:13]
	v_add_f64 v[10:11], v[36:37], v[20:21]
	v_mul_f64 v[40:41], v[124:125], s[50:51]
	v_add_f64 v[14:15], v[18:19], v[14:15]
	v_fma_f64 v[18:19], v[86:87], s[26:27], -v[48:49]
	v_add_f64 v[20:21], v[34:35], v[24:25]
	v_fma_f64 v[24:25], v[100:101], s[52:53], v[38:39]
	v_mul_f64 v[34:35], v[172:173], s[16:17]
	v_fma_f64 v[36:37], v[128:129], s[4:5], v[32:33]
	v_add_f64 v[10:11], v[12:13], v[10:11]
	v_fma_f64 v[12:13], v[76:77], s[42:43], v[46:47]
	v_fma_f64 v[16:17], v[60:61], s[36:37], -v[16:17]
	v_add_f64 v[14:15], v[18:19], v[14:15]
	v_mul_f64 v[42:43], v[120:121], s[46:47]
	v_add_f64 v[18:19], v[24:25], v[20:21]
	v_fma_f64 v[20:21], v[98:99], s[34:35], v[34:35]
	v_add_f64 v[24:25], v[0:1], v[36:37]
	v_fma_f64 v[36:37], v[96:97], s[26:27], v[40:41]
	v_add_f64 v[10:11], v[12:13], v[10:11]
	v_mul_f64 v[44:45], v[164:165], s[14:15]
	v_add_f64 v[14:15], v[16:17], v[14:15]
	v_fma_f64 v[12:13], v[138:139], s[52:53], v[22:23]
	v_fma_f64 v[22:23], v[102:103], s[44:45], v[42:43]
	v_add_f64 v[16:17], v[20:21], v[18:19]
	v_fma_f64 v[18:19], v[148:149], s[10:11], v[26:27]
	v_add_f64 v[20:21], v[36:37], v[24:25]
	v_mul_f64 v[24:25], v[118:119], s[30:31]
	v_fma_f64 v[26:27], v[92:93], s[20:21], v[44:45]
	v_fma_f64 v[28:29], v[178:179], s[44:45], -v[28:29]
	v_mul_f64 v[36:37], v[166:167], s[0:1]
	v_fma_f64 v[30:31], v[112:113], s[50:51], v[30:31]
	v_add_f64 v[12:13], v[12:13], v[10:11]
	v_add_f64 v[18:19], v[4:5], v[18:19]
	;; [unrolled: 1-line block ×3, first 2 shown]
	v_fma_f64 v[22:23], v[106:107], s[16:17], v[24:25]
	v_add_f64 v[16:17], v[26:27], v[16:17]
	v_mul_f64 v[26:27], v[116:117], s[18:19]
	v_fma_f64 v[46:47], v[74:75], s[8:9], v[36:37]
	v_mul_f64 v[48:49], v[154:155], s[22:23]
	v_add_f64 v[10:11], v[28:29], v[14:15]
	v_add_f64 v[18:19], v[30:31], v[18:19]
	v_fma_f64 v[30:31], v[100:101], s[46:47], v[38:39]
	v_add_f64 v[14:15], v[22:23], v[20:21]
	v_fma_f64 v[20:21], v[128:129], s[4:5], -v[32:33]
	v_fma_f64 v[22:23], v[82:83], s[14:15], v[26:27]
	v_mul_f64 v[28:29], v[110:111], s[6:7]
	v_add_f64 v[16:17], v[46:47], v[16:17]
	v_fma_f64 v[32:33], v[76:77], s[28:29], v[48:49]
	v_mul_f64 v[38:39], v[62:63], s[40:41]
	v_add_f64 v[18:19], v[30:31], v[18:19]
	v_fma_f64 v[30:31], v[98:99], s[30:31], v[34:35]
	v_fma_f64 v[34:35], v[96:97], s[26:27], -v[40:41]
	v_add_f64 v[20:21], v[0:1], v[20:21]
	v_add_f64 v[14:15], v[22:23], v[14:15]
	v_fma_f64 v[22:23], v[86:87], s[0:1], v[28:29]
	v_mul_f64 v[40:41], v[132:133], s[36:37]
	v_add_f64 v[16:17], v[32:33], v[16:17]
	v_fma_f64 v[32:33], v[102:103], s[44:45], -v[42:43]
	v_add_f64 v[18:19], v[30:31], v[18:19]
	v_fma_f64 v[30:31], v[92:93], s[18:19], v[44:45]
	v_add_f64 v[20:21], v[34:35], v[20:21]
	v_mul_f64 v[42:43], v[50:51], s[16:17]
	v_add_f64 v[14:15], v[22:23], v[14:15]
	v_fma_f64 v[22:23], v[60:61], s[22:23], v[38:39]
	v_fma_f64 v[34:35], v[138:139], s[48:49], v[40:41]
	v_mul_f64 v[44:45], v[158:159], s[42:43]
	v_fma_f64 v[24:25], v[106:107], s[16:17], -v[24:25]
	v_add_f64 v[18:19], v[30:31], v[18:19]
	v_fma_f64 v[30:31], v[74:75], s[6:7], v[36:37]
	v_add_f64 v[20:21], v[32:33], v[20:21]
	v_mul_f64 v[32:33], v[182:183], s[36:37]
	v_add_f64 v[14:15], v[22:23], v[14:15]
	v_add_f64 v[16:17], v[34:35], v[16:17]
	v_fma_f64 v[22:23], v[148:149], s[30:31], v[42:43]
	v_fma_f64 v[34:35], v[178:179], s[36:37], v[44:45]
	v_mul_f64 v[46:47], v[180:181], s[14:15]
	v_add_f64 v[18:19], v[30:31], v[18:19]
	v_mul_f64 v[30:31], v[150:151], s[34:35]
	v_add_f64 v[20:21], v[24:25], v[20:21]
	v_fma_f64 v[24:25], v[82:83], s[14:15], -v[26:27]
	v_fma_f64 v[26:27], v[76:77], s[40:41], v[48:49]
	v_add_f64 v[22:23], v[4:5], v[22:23]
	v_fma_f64 v[36:37], v[112:113], s[42:43], v[32:33]
	v_add_f64 v[14:15], v[34:35], v[14:15]
	v_mul_f64 v[48:49], v[124:125], s[48:49]
	v_fma_f64 v[34:35], v[128:129], s[16:17], v[30:31]
	v_mul_f64 v[52:53], v[120:121], s[18:19]
	v_add_f64 v[20:21], v[24:25], v[20:21]
	v_fma_f64 v[24:25], v[86:87], s[0:1], -v[28:29]
	v_add_f64 v[18:19], v[26:27], v[18:19]
	v_add_f64 v[22:23], v[36:37], v[22:23]
	v_fma_f64 v[26:27], v[100:101], s[20:21], v[46:47]
	v_mul_f64 v[28:29], v[172:173], s[4:5]
	v_add_f64 v[34:35], v[0:1], v[34:35]
	v_fma_f64 v[36:37], v[96:97], s[36:37], v[48:49]
	v_mul_f64 v[54:55], v[118:119], s[10:11]
	v_add_f64 v[20:21], v[24:25], v[20:21]
	v_fma_f64 v[24:25], v[60:61], s[22:23], -v[38:39]
	v_fma_f64 v[38:39], v[138:139], s[42:43], v[40:41]
	v_add_f64 v[22:23], v[26:27], v[22:23]
	v_fma_f64 v[26:27], v[98:99], s[24:25], v[28:29]
	v_mul_f64 v[40:41], v[164:165], s[44:45]
	v_add_f64 v[34:35], v[36:37], v[34:35]
	v_fma_f64 v[36:37], v[102:103], s[14:15], v[52:53]
	v_fma_f64 v[44:45], v[178:179], s[36:37], -v[44:45]
	v_add_f64 v[24:25], v[24:25], v[20:21]
	v_add_f64 v[20:21], v[38:39], v[18:19]
	v_fma_f64 v[38:39], v[148:149], s[34:35], v[42:43]
	v_add_f64 v[22:23], v[26:27], v[22:23]
	v_fma_f64 v[26:27], v[92:93], s[46:47], v[40:41]
	v_mul_f64 v[42:43], v[116:117], s[52:53]
	v_add_f64 v[34:35], v[36:37], v[34:35]
	v_fma_f64 v[36:37], v[106:107], s[4:5], v[54:55]
	v_add_f64 v[18:19], v[44:45], v[24:25]
	v_mul_f64 v[24:25], v[166:167], s[22:23]
	v_fma_f64 v[32:33], v[112:113], s[48:49], v[32:33]
	v_fma_f64 v[30:31], v[128:129], s[16:17], -v[30:31]
	v_add_f64 v[38:39], v[4:5], v[38:39]
	v_add_f64 v[22:23], v[26:27], v[22:23]
	v_fma_f64 v[48:49], v[96:97], s[36:37], -v[48:49]
	v_add_f64 v[26:27], v[36:37], v[34:35]
	v_fma_f64 v[34:35], v[82:83], s[44:45], v[42:43]
	v_mul_f64 v[36:37], v[110:111], s[28:29]
	v_fma_f64 v[44:45], v[74:75], s[40:41], v[24:25]
	v_add_f64 v[30:31], v[0:1], v[30:31]
	v_add_f64 v[32:33], v[32:33], v[38:39]
	v_fma_f64 v[38:39], v[100:101], s[18:19], v[46:47]
	v_mul_f64 v[46:47], v[154:155], s[0:1]
	v_mul_f64 v[56:57], v[62:63], s[6:7]
	v_add_f64 v[26:27], v[34:35], v[26:27]
	v_fma_f64 v[34:35], v[86:87], s[22:23], v[36:37]
	v_add_f64 v[22:23], v[44:45], v[22:23]
	v_add_f64 v[30:31], v[48:49], v[30:31]
	v_fma_f64 v[44:45], v[102:103], s[14:15], -v[52:53]
	v_add_f64 v[32:33], v[38:39], v[32:33]
	v_fma_f64 v[28:29], v[98:99], s[10:11], v[28:29]
	v_fma_f64 v[38:39], v[76:77], s[8:9], v[46:47]
	v_mul_f64 v[48:49], v[132:133], s[26:27]
	v_add_f64 v[26:27], v[34:35], v[26:27]
	v_fma_f64 v[34:35], v[60:61], s[0:1], v[56:57]
	v_mul_f64 v[52:53], v[158:159], s[50:51]
	v_add_f64 v[30:31], v[44:45], v[30:31]
	v_fma_f64 v[44:45], v[106:107], s[4:5], -v[54:55]
	v_add_f64 v[28:29], v[28:29], v[32:33]
	v_fma_f64 v[32:33], v[92:93], s[52:53], v[40:41]
	v_add_f64 v[22:23], v[38:39], v[22:23]
	v_mul_f64 v[38:39], v[50:51], s[36:37]
	v_add_f64 v[26:27], v[34:35], v[26:27]
	v_fma_f64 v[34:35], v[138:139], s[38:39], v[48:49]
	v_fma_f64 v[40:41], v[178:179], s[26:27], v[52:53]
	v_add_f64 v[30:31], v[44:45], v[30:31]
	v_fma_f64 v[42:43], v[82:83], s[44:45], -v[42:43]
	v_add_f64 v[28:29], v[32:33], v[28:29]
	v_fma_f64 v[32:33], v[74:75], s[28:29], v[24:25]
	v_mul_f64 v[44:45], v[150:151], s[42:43]
	v_mul_f64 v[54:55], v[182:183], s[4:5]
	v_add_f64 v[24:25], v[34:35], v[22:23]
	v_fma_f64 v[34:35], v[148:149], s[48:49], v[38:39]
	v_add_f64 v[22:23], v[40:41], v[26:27]
	v_add_f64 v[26:27], v[42:43], v[30:31]
	v_fma_f64 v[30:31], v[86:87], s[22:23], -v[36:37]
	v_add_f64 v[28:29], v[32:33], v[28:29]
	v_fma_f64 v[32:33], v[128:129], s[36:37], v[44:45]
	v_mul_f64 v[36:37], v[124:125], s[24:25]
	v_fma_f64 v[40:41], v[112:113], s[10:11], v[54:55]
	v_add_f64 v[34:35], v[4:5], v[34:35]
	v_mul_f64 v[42:43], v[180:181], s[22:23]
	v_fma_f64 v[46:47], v[76:77], s[6:7], v[46:47]
	v_add_f64 v[26:27], v[30:31], v[26:27]
	v_fma_f64 v[30:31], v[60:61], s[0:1], -v[56:57]
	v_add_f64 v[32:33], v[0:1], v[32:33]
	v_fma_f64 v[56:57], v[96:97], s[4:5], v[36:37]
	v_mul_f64 v[185:186], v[120:121], s[40:41]
	v_add_f64 v[34:35], v[40:41], v[34:35]
	v_fma_f64 v[40:41], v[100:101], s[28:29], v[42:43]
	v_mul_f64 v[187:188], v[172:173], s[26:27]
	v_add_f64 v[28:29], v[46:47], v[28:29]
	v_add_f64 v[26:27], v[30:31], v[26:27]
	v_fma_f64 v[30:31], v[138:139], s[50:51], v[48:49]
	v_add_f64 v[32:33], v[56:57], v[32:33]
	v_fma_f64 v[46:47], v[102:103], s[22:23], v[185:186]
	v_mul_f64 v[48:49], v[118:119], s[38:39]
	v_add_f64 v[34:35], v[40:41], v[34:35]
	v_fma_f64 v[40:41], v[98:99], s[50:51], v[187:188]
	v_mul_f64 v[56:57], v[164:165], s[0:1]
	v_fma_f64 v[52:53], v[178:179], s[26:27], -v[52:53]
	v_add_f64 v[28:29], v[30:31], v[28:29]
	v_fma_f64 v[30:31], v[148:149], s[42:43], v[38:39]
	v_add_f64 v[32:33], v[46:47], v[32:33]
	v_fma_f64 v[38:39], v[106:107], s[26:27], v[48:49]
	v_mul_f64 v[46:47], v[116:117], s[6:7]
	v_add_f64 v[34:35], v[40:41], v[34:35]
	v_fma_f64 v[40:41], v[92:93], s[8:9], v[56:57]
	v_mul_f64 v[189:190], v[166:167], s[44:45]
	v_fma_f64 v[54:55], v[112:113], s[24:25], v[54:55]
	v_add_f64 v[30:31], v[4:5], v[30:31]
	v_add_f64 v[26:27], v[52:53], v[26:27]
	;; [unrolled: 1-line block ×3, first 2 shown]
	v_fma_f64 v[38:39], v[82:83], s[0:1], v[46:47]
	v_mul_f64 v[52:53], v[110:111], s[52:53]
	v_fma_f64 v[44:45], v[128:129], s[36:37], -v[44:45]
	v_add_f64 v[34:35], v[40:41], v[34:35]
	v_fma_f64 v[40:41], v[74:75], s[46:47], v[189:190]
	v_add_f64 v[30:31], v[54:55], v[30:31]
	v_fma_f64 v[42:43], v[100:101], s[40:41], v[42:43]
	v_mul_f64 v[54:55], v[154:155], s[14:15]
	v_add_f64 v[32:33], v[38:39], v[32:33]
	v_fma_f64 v[38:39], v[86:87], s[44:45], v[52:53]
	v_mul_f64 v[191:192], v[62:63], s[18:19]
	v_fma_f64 v[36:37], v[96:97], s[4:5], -v[36:37]
	v_add_f64 v[44:45], v[0:1], v[44:45]
	v_add_f64 v[34:35], v[40:41], v[34:35]
	;; [unrolled: 1-line block ×3, first 2 shown]
	v_fma_f64 v[40:41], v[98:99], s[38:39], v[187:188]
	v_fma_f64 v[42:43], v[76:77], s[20:21], v[54:55]
	v_add_f64 v[32:33], v[38:39], v[32:33]
	v_fma_f64 v[38:39], v[60:61], s[14:15], v[191:192]
	v_mul_f64 v[187:188], v[132:133], s[16:17]
	v_add_f64 v[36:37], v[36:37], v[44:45]
	v_fma_f64 v[44:45], v[102:103], s[22:23], -v[185:186]
	v_mul_f64 v[185:186], v[158:159], s[34:35]
	v_add_f64 v[30:31], v[40:41], v[30:31]
	v_fma_f64 v[40:41], v[92:93], s[6:7], v[56:57]
	v_add_f64 v[34:35], v[42:43], v[34:35]
	v_add_f64 v[38:39], v[38:39], v[32:33]
	v_fma_f64 v[32:33], v[138:139], s[30:31], v[187:188]
	v_mul_f64 v[42:43], v[50:51], s[44:45]
	v_add_f64 v[36:37], v[44:45], v[36:37]
	v_fma_f64 v[44:45], v[106:107], s[26:27], -v[48:49]
	v_fma_f64 v[48:49], v[178:179], s[16:17], v[185:186]
	v_add_f64 v[40:41], v[40:41], v[30:31]
	v_fma_f64 v[56:57], v[74:75], s[52:53], v[189:190]
	v_mul_f64 v[189:190], v[150:151], s[46:47]
	v_add_f64 v[32:33], v[32:33], v[34:35]
	v_fma_f64 v[34:35], v[148:149], s[52:53], v[42:43]
	v_mul_f64 v[193:194], v[182:183], s[0:1]
	v_add_f64 v[36:37], v[44:45], v[36:37]
	v_fma_f64 v[44:45], v[82:83], s[0:1], -v[46:47]
	v_add_f64 v[30:31], v[48:49], v[38:39]
	v_add_f64 v[38:39], v[56:57], v[40:41]
	v_fma_f64 v[40:41], v[128:129], s[44:45], v[189:190]
	v_mul_f64 v[46:47], v[124:125], s[6:7]
	v_add_f64 v[34:35], v[4:5], v[34:35]
	v_fma_f64 v[48:49], v[112:113], s[8:9], v[193:194]
	v_mul_f64 v[56:57], v[180:181], s[36:37]
	v_add_f64 v[36:37], v[44:45], v[36:37]
	v_fma_f64 v[44:45], v[86:87], s[44:45], -v[52:53]
	v_fma_f64 v[52:53], v[76:77], s[18:19], v[54:55]
	v_add_f64 v[40:41], v[0:1], v[40:41]
	v_fma_f64 v[54:55], v[96:97], s[0:1], v[46:47]
	v_mul_f64 v[195:196], v[120:121], s[48:49]
	v_add_f64 v[34:35], v[48:49], v[34:35]
	v_fma_f64 v[48:49], v[100:101], s[42:43], v[56:57]
	v_mul_f64 v[197:198], v[172:173], s[14:15]
	v_add_f64 v[36:37], v[44:45], v[36:37]
	v_fma_f64 v[44:45], v[60:61], s[14:15], -v[191:192]
	v_add_f64 v[38:39], v[52:53], v[38:39]
	v_add_f64 v[40:41], v[54:55], v[40:41]
	v_fma_f64 v[52:53], v[102:103], s[36:37], v[195:196]
	v_mul_f64 v[54:55], v[118:119], s[20:21]
	v_add_f64 v[34:35], v[48:49], v[34:35]
	v_fma_f64 v[48:49], v[98:99], s[18:19], v[197:198]
	v_mul_f64 v[191:192], v[164:165], s[26:27]
	v_add_f64 v[36:37], v[44:45], v[36:37]
	v_fma_f64 v[44:45], v[138:139], s[34:35], v[187:188]
	v_fma_f64 v[185:186], v[178:179], s[16:17], -v[185:186]
	v_add_f64 v[52:53], v[52:53], v[40:41]
	v_fma_f64 v[187:188], v[106:107], s[14:15], v[54:55]
	v_mul_f64 v[199:200], v[116:117], s[38:39]
	v_add_f64 v[34:35], v[48:49], v[34:35]
	v_fma_f64 v[48:49], v[92:93], s[50:51], v[191:192]
	v_mul_f64 v[201:202], v[166:167], s[4:5]
	v_add_f64 v[40:41], v[44:45], v[38:39]
	v_add_f64 v[38:39], v[185:186], v[36:37]
	v_fma_f64 v[36:37], v[148:149], s[46:47], v[42:43]
	v_add_f64 v[42:43], v[187:188], v[52:53]
	v_fma_f64 v[44:45], v[82:83], s[26:27], v[199:200]
	v_mul_f64 v[52:53], v[110:111], s[10:11]
	v_add_f64 v[34:35], v[48:49], v[34:35]
	v_fma_f64 v[48:49], v[74:75], s[24:25], v[201:202]
	v_fma_f64 v[185:186], v[112:113], s[6:7], v[193:194]
	v_fma_f64 v[187:188], v[128:129], s[44:45], -v[189:190]
	v_add_f64 v[36:37], v[4:5], v[36:37]
	v_mul_f64 v[189:190], v[154:155], s[16:17]
	v_add_f64 v[42:43], v[44:45], v[42:43]
	v_fma_f64 v[44:45], v[86:87], s[4:5], v[52:53]
	v_mul_f64 v[193:194], v[62:63], s[30:31]
	v_add_f64 v[34:35], v[48:49], v[34:35]
	v_fma_f64 v[46:47], v[96:97], s[0:1], -v[46:47]
	v_add_f64 v[48:49], v[0:1], v[187:188]
	v_add_f64 v[36:37], v[185:186], v[36:37]
	v_fma_f64 v[56:57], v[100:101], s[48:49], v[56:57]
	v_fma_f64 v[185:186], v[76:77], s[34:35], v[189:190]
	v_add_f64 v[42:43], v[44:45], v[42:43]
	v_fma_f64 v[44:45], v[60:61], s[16:17], v[193:194]
	v_mul_f64 v[187:188], v[132:133], s[22:23]
	v_mul_f64 v[203:204], v[158:159], s[40:41]
	v_add_f64 v[46:47], v[46:47], v[48:49]
	v_fma_f64 v[48:49], v[102:103], s[36:37], -v[195:196]
	v_add_f64 v[36:37], v[56:57], v[36:37]
	v_fma_f64 v[56:57], v[98:99], s[20:21], v[197:198]
	v_add_f64 v[34:35], v[185:186], v[34:35]
	v_add_f64 v[42:43], v[44:45], v[42:43]
	v_fma_f64 v[44:45], v[138:139], s[28:29], v[187:188]
	v_mul_f64 v[185:186], v[50:51], s[26:27]
	v_fma_f64 v[195:196], v[178:179], s[22:23], v[203:204]
	v_add_f64 v[46:47], v[48:49], v[46:47]
	v_fma_f64 v[48:49], v[106:107], s[14:15], -v[54:55]
	v_add_f64 v[54:55], v[56:57], v[36:37]
	v_fma_f64 v[56:57], v[92:93], s[38:39], v[191:192]
	v_mul_f64 v[191:192], v[150:151], s[38:39]
	v_add_f64 v[36:37], v[44:45], v[34:35]
	v_fma_f64 v[44:45], v[148:149], s[50:51], v[185:186]
	v_mul_f64 v[197:198], v[182:183], s[16:17]
	v_add_f64 v[34:35], v[195:196], v[42:43]
	v_add_f64 v[42:43], v[48:49], v[46:47]
	v_fma_f64 v[46:47], v[82:83], s[26:27], -v[199:200]
	v_add_f64 v[48:49], v[56:57], v[54:55]
	v_fma_f64 v[54:55], v[128:129], s[26:27], v[191:192]
	v_mul_f64 v[56:57], v[124:125], s[34:35]
	v_add_f64 v[44:45], v[4:5], v[44:45]
	v_fma_f64 v[195:196], v[112:113], s[30:31], v[197:198]
	v_mul_f64 v[199:200], v[180:181], s[0:1]
	v_fma_f64 v[201:202], v[74:75], s[10:11], v[201:202]
	v_add_f64 v[42:43], v[46:47], v[42:43]
	v_fma_f64 v[46:47], v[86:87], s[4:5], -v[52:53]
	v_add_f64 v[52:53], v[0:1], v[54:55]
	v_fma_f64 v[54:55], v[96:97], s[16:17], v[56:57]
	v_mul_f64 v[205:206], v[120:121], s[8:9]
	v_add_f64 v[44:45], v[195:196], v[44:45]
	v_fma_f64 v[195:196], v[100:101], s[6:7], v[199:200]
	v_mul_f64 v[207:208], v[172:173], s[36:37]
	v_add_f64 v[48:49], v[201:202], v[48:49]
	v_fma_f64 v[189:190], v[76:77], s[30:31], v[189:190]
	v_add_f64 v[42:43], v[46:47], v[42:43]
	v_add_f64 v[46:47], v[54:55], v[52:53]
	v_fma_f64 v[52:53], v[102:103], s[0:1], v[205:206]
	v_mul_f64 v[54:55], v[118:119], s[48:49]
	v_add_f64 v[44:45], v[195:196], v[44:45]
	v_fma_f64 v[195:196], v[98:99], s[42:43], v[207:208]
	v_mul_f64 v[201:202], v[164:165], s[22:23]
	v_fma_f64 v[193:194], v[60:61], s[16:17], -v[193:194]
	v_add_f64 v[48:49], v[189:190], v[48:49]
	v_fma_f64 v[187:188], v[138:139], s[40:41], v[187:188]
	v_add_f64 v[46:47], v[52:53], v[46:47]
	v_fma_f64 v[52:53], v[106:107], s[36:37], v[54:55]
	v_mul_f64 v[189:190], v[116:117], s[40:41]
	v_add_f64 v[44:45], v[195:196], v[44:45]
	v_fma_f64 v[195:196], v[92:93], s[28:29], v[201:202]
	v_add_f64 v[42:43], v[193:194], v[42:43]
	v_mul_f64 v[193:194], v[166:167], s[14:15]
	v_fma_f64 v[203:204], v[178:179], s[22:23], -v[203:204]
	v_add_f64 v[48:49], v[187:188], v[48:49]
	v_add_f64 v[52:53], v[52:53], v[46:47]
	v_fma_f64 v[187:188], v[82:83], s[22:23], v[189:190]
	v_mul_f64 v[209:210], v[110:111], s[18:19]
	v_fma_f64 v[185:186], v[148:149], s[38:39], v[185:186]
	v_add_f64 v[44:45], v[195:196], v[44:45]
	v_fma_f64 v[195:196], v[74:75], s[20:21], v[193:194]
	v_add_f64 v[46:47], v[203:204], v[42:43]
	v_mul_f64 v[203:204], v[154:155], s[44:45]
	v_fma_f64 v[42:43], v[128:129], s[26:27], -v[191:192]
	v_add_f64 v[52:53], v[187:188], v[52:53]
	v_fma_f64 v[187:188], v[86:87], s[14:15], v[209:210]
	v_fma_f64 v[191:192], v[112:113], s[34:35], v[197:198]
	v_add_f64 v[185:186], v[4:5], v[185:186]
	v_add_f64 v[44:45], v[195:196], v[44:45]
	v_mul_f64 v[195:196], v[62:63], s[46:47]
	v_fma_f64 v[56:57], v[96:97], s[16:17], -v[56:57]
	v_add_f64 v[42:43], v[0:1], v[42:43]
	v_fma_f64 v[197:198], v[76:77], s[52:53], v[203:204]
	v_add_f64 v[52:53], v[187:188], v[52:53]
	v_mul_f64 v[187:188], v[132:133], s[4:5]
	v_add_f64 v[185:186], v[191:192], v[185:186]
	v_fma_f64 v[191:192], v[100:101], s[8:9], v[199:200]
	v_fma_f64 v[199:200], v[60:61], s[44:45], v[195:196]
	v_mul_f64 v[211:212], v[158:159], s[10:11]
	v_add_f64 v[42:43], v[56:57], v[42:43]
	v_fma_f64 v[56:57], v[102:103], s[0:1], -v[205:206]
	v_add_f64 v[44:45], v[197:198], v[44:45]
	v_fma_f64 v[197:198], v[138:139], s[24:25], v[187:188]
	v_mul_f64 v[205:206], v[50:51], s[22:23]
	v_add_f64 v[185:186], v[191:192], v[185:186]
	v_fma_f64 v[191:192], v[98:99], s[48:49], v[207:208]
	v_add_f64 v[52:53], v[199:200], v[52:53]
	v_fma_f64 v[199:200], v[178:179], s[4:5], v[211:212]
	v_add_f64 v[56:57], v[56:57], v[42:43]
	v_fma_f64 v[54:55], v[106:107], s[36:37], -v[54:55]
	v_add_f64 v[44:45], v[197:198], v[44:45]
	v_fma_f64 v[197:198], v[148:149], s[40:41], v[205:206]
	v_mul_f64 v[207:208], v[182:183], s[44:45]
	v_add_f64 v[185:186], v[191:192], v[185:186]
	v_fma_f64 v[191:192], v[92:93], s[40:41], v[201:202]
	v_mul_f64 v[201:202], v[150:151], s[28:29]
	v_add_f64 v[42:43], v[199:200], v[52:53]
	v_add_f64 v[52:53], v[54:55], v[56:57]
	v_fma_f64 v[54:55], v[82:83], s[22:23], -v[189:190]
	v_add_f64 v[56:57], v[4:5], v[197:198]
	v_fma_f64 v[189:190], v[112:113], s[52:53], v[207:208]
	v_mul_f64 v[197:198], v[180:181], s[16:17]
	v_add_f64 v[185:186], v[191:192], v[185:186]
	v_fma_f64 v[191:192], v[128:129], s[22:23], v[201:202]
	v_mul_f64 v[199:200], v[124:125], s[46:47]
	v_fma_f64 v[193:194], v[74:75], s[18:19], v[193:194]
	v_add_f64 v[52:53], v[54:55], v[52:53]
	v_fma_f64 v[54:55], v[86:87], s[14:15], -v[209:210]
	v_add_f64 v[56:57], v[189:190], v[56:57]
	v_fma_f64 v[189:190], v[100:101], s[30:31], v[197:198]
	v_mul_f64 v[209:210], v[172:173], s[0:1]
	v_add_f64 v[191:192], v[0:1], v[191:192]
	v_fma_f64 v[213:214], v[96:97], s[44:45], v[199:200]
	v_mul_f64 v[215:216], v[120:121], s[34:35]
	v_add_f64 v[185:186], v[193:194], v[185:186]
	v_fma_f64 v[193:194], v[76:77], s[46:47], v[203:204]
	v_add_f64 v[52:53], v[54:55], v[52:53]
	v_add_f64 v[54:55], v[189:190], v[56:57]
	v_fma_f64 v[56:57], v[98:99], s[8:9], v[209:210]
	v_mul_f64 v[189:190], v[164:165], s[4:5]
	v_add_f64 v[191:192], v[213:214], v[191:192]
	v_fma_f64 v[203:204], v[102:103], s[16:17], v[215:216]
	v_mul_f64 v[213:214], v[118:119], s[6:7]
	v_fma_f64 v[195:196], v[60:61], s[44:45], -v[195:196]
	v_add_f64 v[185:186], v[193:194], v[185:186]
	v_fma_f64 v[187:188], v[138:139], s[10:11], v[187:188]
	v_add_f64 v[54:55], v[56:57], v[54:55]
	v_fma_f64 v[193:194], v[92:93], s[10:11], v[189:190]
	v_mul_f64 v[217:218], v[166:167], s[36:37]
	v_add_f64 v[191:192], v[203:204], v[191:192]
	v_fma_f64 v[203:204], v[106:107], s[0:1], v[213:214]
	v_add_f64 v[52:53], v[195:196], v[52:53]
	v_mul_f64 v[195:196], v[116:117], s[24:25]
	v_add_f64 v[56:57], v[187:188], v[185:186]
	v_fma_f64 v[185:186], v[148:149], s[28:29], v[205:206]
	v_add_f64 v[54:55], v[193:194], v[54:55]
	v_fma_f64 v[187:188], v[74:75], s[42:43], v[217:218]
	v_fma_f64 v[193:194], v[128:129], s[22:23], -v[201:202]
	v_add_f64 v[191:192], v[203:204], v[191:192]
	v_mul_f64 v[203:204], v[110:111], s[48:49]
	v_fma_f64 v[201:202], v[82:83], s[4:5], v[195:196]
	v_fma_f64 v[207:208], v[112:113], s[46:47], v[207:208]
	v_add_f64 v[185:186], v[4:5], v[185:186]
	v_add_f64 v[174:175], v[4:5], v[174:175]
	;; [unrolled: 1-line block ×3, first 2 shown]
	v_fma_f64 v[187:188], v[96:97], s[44:45], -v[199:200]
	v_add_f64 v[193:194], v[0:1], v[193:194]
	v_fma_f64 v[199:200], v[86:87], s[36:37], v[203:204]
	v_add_f64 v[191:192], v[201:202], v[191:192]
	v_mul_f64 v[201:202], v[62:63], s[50:51]
	v_add_f64 v[176:177], v[0:1], v[176:177]
	v_add_f64 v[185:186], v[207:208], v[185:186]
	v_fma_f64 v[197:198], v[100:101], s[34:35], v[197:198]
	v_add_f64 v[170:171], v[170:171], v[174:175]
	v_add_f64 v[187:188], v[187:188], v[193:194]
	v_fma_f64 v[193:194], v[102:103], s[16:17], -v[215:216]
	v_add_f64 v[191:192], v[199:200], v[191:192]
	v_fma_f64 v[199:200], v[60:61], s[26:27], v[201:202]
	v_mul_f64 v[215:216], v[158:159], s[20:21]
	v_add_f64 v[168:169], v[168:169], v[176:177]
	v_add_f64 v[185:186], v[197:198], v[185:186]
	v_fma_f64 v[197:198], v[98:99], s[6:7], v[209:210]
	v_add_f64 v[156:157], v[156:157], v[170:171]
	v_add_f64 v[187:188], v[193:194], v[187:188]
	v_fma_f64 v[193:194], v[106:107], s[0:1], -v[213:214]
	v_add_f64 v[191:192], v[199:200], v[191:192]
	v_fma_f64 v[199:200], v[178:179], s[14:15], v[215:216]
	v_mul_f64 v[213:214], v[50:51], s[14:15]
	v_add_f64 v[152:153], v[152:153], v[168:169]
	v_add_f64 v[185:186], v[197:198], v[185:186]
	v_fma_f64 v[189:190], v[92:93], s[24:25], v[189:190]
	v_mul_f64 v[182:183], v[182:183], s[22:23]
	v_add_f64 v[140:141], v[140:141], v[156:157]
	v_mul_f64 v[205:206], v[154:155], s[26:27]
	v_add_f64 v[50:51], v[199:200], v[191:192]
	v_fma_f64 v[191:192], v[148:149], s[20:21], v[213:214]
	v_add_f64 v[152:153], v[136:137], v[152:153]
	v_add_f64 v[187:188], v[193:194], v[187:188]
	v_fma_f64 v[193:194], v[82:83], s[4:5], -v[195:196]
	v_add_f64 v[185:186], v[189:190], v[185:186]
	v_fma_f64 v[189:190], v[74:75], s[48:49], v[217:218]
	v_fma_f64 v[195:196], v[112:113], s[40:41], v[182:183]
	v_mul_f64 v[174:175], v[180:181], s[26:27]
	v_add_f64 v[191:192], v[4:5], v[191:192]
	v_add_f64 v[140:141], v[134:135], v[140:141]
	;; [unrolled: 1-line block ×3, first 2 shown]
	v_mul_f64 v[207:208], v[132:133], s[14:15]
	v_fma_f64 v[176:177], v[76:77], s[50:51], v[205:206]
	v_add_f64 v[180:181], v[189:190], v[185:186]
	v_mul_f64 v[172:173], v[172:173], s[44:45]
	v_fma_f64 v[170:171], v[100:101], s[50:51], v[174:175]
	v_add_f64 v[189:190], v[195:196], v[191:192]
	v_add_f64 v[122:123], v[122:123], v[140:141]
	;; [unrolled: 1-line block ×3, first 2 shown]
	v_mul_f64 v[164:165], v[164:165], s[36:37]
	v_mul_f64 v[150:151], v[150:151], s[18:19]
	v_add_f64 v[168:169], v[176:177], v[180:181]
	v_fma_f64 v[176:177], v[138:139], s[20:21], v[207:208]
	v_fma_f64 v[148:149], v[148:149], s[18:19], v[213:214]
	v_add_f64 v[156:157], v[170:171], v[189:190]
	v_fma_f64 v[170:171], v[98:99], s[52:53], v[172:173]
	v_add_f64 v[104:105], v[104:105], v[122:123]
	v_add_f64 v[126:127], v[130:131], v[126:127]
	v_fma_f64 v[152:153], v[92:93], s[48:49], v[164:165]
	v_mul_f64 v[166:167], v[166:167], s[16:17]
	v_add_f64 v[136:137], v[176:177], v[168:169]
	v_fma_f64 v[168:169], v[128:129], s[14:15], v[150:151]
	v_mul_f64 v[124:125], v[124:125], s[28:29]
	v_add_f64 v[156:157], v[170:171], v[156:157]
	v_fma_f64 v[128:129], v[128:129], s[14:15], -v[150:151]
	v_add_f64 v[104:105], v[162:163], v[104:105]
	v_add_f64 v[126:127], v[160:161], v[126:127]
	;; [unrolled: 1-line block ×3, first 2 shown]
	v_fma_f64 v[142:143], v[74:75], s[30:31], v[166:167]
	v_add_f64 v[148:149], v[0:1], v[168:169]
	v_fma_f64 v[122:123], v[96:97], s[22:23], v[124:125]
	v_add_f64 v[140:141], v[152:153], v[156:157]
	v_mul_f64 v[120:121], v[120:121], s[38:39]
	v_fma_f64 v[112:113], v[112:113], s[28:29], v[182:183]
	v_add_f64 v[0:1], v[0:1], v[128:129]
	v_fma_f64 v[96:97], v[96:97], s[22:23], -v[124:125]
	v_add_f64 v[104:105], v[144:145], v[104:105]
	v_add_f64 v[124:125], v[146:147], v[126:127]
	;; [unrolled: 1-line block ×4, first 2 shown]
	v_fma_f64 v[140:141], v[102:103], s[26:27], v[120:121]
	v_mul_f64 v[118:119], v[118:119], s[46:47]
	v_fma_f64 v[100:101], v[100:101], s[38:39], v[174:175]
	v_add_f64 v[4:5], v[112:113], v[4:5]
	v_add_f64 v[0:1], v[96:97], v[0:1]
	;; [unrolled: 1-line block ×4, first 2 shown]
	v_mul_f64 v[150:151], v[154:155], s[4:5]
	v_add_f64 v[122:123], v[140:141], v[122:123]
	v_fma_f64 v[126:127], v[106:107], s[44:45], v[118:119]
	v_fma_f64 v[98:99], v[98:99], s[46:47], v[172:173]
	v_add_f64 v[4:5], v[100:101], v[4:5]
	v_fma_f64 v[100:101], v[102:103], s[26:27], -v[120:121]
	v_mul_f64 v[102:103], v[116:117], s[42:43]
	v_add_f64 v[84:85], v[84:85], v[96:97]
	v_add_f64 v[78:79], v[78:79], v[104:105]
	v_fma_f64 v[130:131], v[76:77], s[24:25], v[150:151]
	v_add_f64 v[108:109], v[126:127], v[122:123]
	v_fma_f64 v[106:107], v[106:107], s[44:45], -v[118:119]
	v_mul_f64 v[114:115], v[132:133], s[0:1]
	v_add_f64 v[0:1], v[100:101], v[0:1]
	v_fma_f64 v[96:97], v[82:83], s[36:37], v[102:103]
	v_add_f64 v[4:5], v[98:99], v[4:5]
	v_mul_f64 v[98:99], v[110:111], s[34:35]
	v_fma_f64 v[92:93], v[92:93], s[42:43], v[164:165]
	v_add_f64 v[80:81], v[80:81], v[84:85]
	v_add_f64 v[72:73], v[72:73], v[78:79]
	;; [unrolled: 1-line block ×3, first 2 shown]
	v_fma_f64 v[82:83], v[82:83], s[36:37], -v[102:103]
	v_fma_f64 v[100:101], v[138:139], s[8:9], v[114:115]
	v_add_f64 v[0:1], v[106:107], v[0:1]
	v_add_f64 v[84:85], v[96:97], v[108:109]
	v_mul_f64 v[78:79], v[62:63], s[10:11]
	v_fma_f64 v[96:97], v[86:87], s[16:17], v[98:99]
	v_fma_f64 v[74:75], v[74:75], s[34:35], v[166:167]
	v_add_f64 v[4:5], v[92:93], v[4:5]
	v_add_f64 v[80:81], v[90:91], v[80:81]
	;; [unrolled: 1-line block ×4, first 2 shown]
	v_fma_f64 v[193:194], v[86:87], s[36:37], -v[203:204]
	v_add_f64 v[62:63], v[100:101], v[112:113]
	v_mul_f64 v[100:101], v[158:159], s[6:7]
	v_fma_f64 v[86:87], v[86:87], s[16:17], -v[98:99]
	v_add_f64 v[0:1], v[82:83], v[0:1]
	v_fma_f64 v[82:83], v[60:61], s[4:5], v[78:79]
	v_add_f64 v[84:85], v[96:97], v[84:85]
	v_fma_f64 v[219:220], v[76:77], s[38:39], v[205:206]
	v_fma_f64 v[76:77], v[76:77], s[10:11], v[150:151]
	v_add_f64 v[4:5], v[74:75], v[4:5]
	v_add_f64 v[68:69], v[68:69], v[80:81]
	;; [unrolled: 1-line block ×4, first 2 shown]
	v_fma_f64 v[187:188], v[60:61], s[26:27], -v[201:202]
	v_fma_f64 v[60:61], v[60:61], s[4:5], -v[78:79]
	v_add_f64 v[0:1], v[86:87], v[0:1]
	v_fma_f64 v[74:75], v[178:179], s[0:1], v[100:101]
	v_add_f64 v[78:79], v[82:83], v[84:85]
	v_fma_f64 v[72:73], v[138:139], s[6:7], v[114:115]
	v_add_f64 v[4:5], v[76:77], v[4:5]
	v_add_f64 v[68:69], v[66:67], v[68:69]
	;; [unrolled: 1-line block ×3, first 2 shown]
	v_fma_f64 v[76:77], v[178:179], s[0:1], -v[100:101]
	v_mad_u64_u32 v[80:81], s[0:1], s2, v184, 0
	v_add_f64 v[0:1], v[60:61], v[0:1]
	v_add_f64 v[60:61], v[74:75], v[78:79]
	;; [unrolled: 1-line block ×3, first 2 shown]
	v_mov_b32_e32 v4, v81
	v_mad_u64_u32 v[72:73], s[0:1], s3, v184, v[4:5]
	v_add_f64 v[4:5], v[58:59], v[68:69]
	v_or_b32_e32 v68, 16, v184
	v_mad_u64_u32 v[58:59], s[0:1], s2, v68, 0
	v_add_f64 v[2:3], v[2:3], v[70:71]
	v_add_f64 v[64:65], v[76:77], v[0:1]
	v_mov_b32_e32 v81, v72
	v_mov_b32_e32 v0, s13
	v_add_co_u32_e32 v71, vcc, s12, v94
	v_mad_u64_u32 v[68:69], s[0:1], s3, v68, v[59:60]
	v_or_b32_e32 v73, 32, v184
	v_addc_co_u32_e32 v72, vcc, v0, v95, vcc
	v_lshlrev_b64 v[0:1], 4, v[80:81]
	v_mad_u64_u32 v[69:70], s[0:1], s2, v73, 0
	v_add_f64 v[180:181], v[187:188], v[185:186]
	v_fma_f64 v[185:186], v[178:179], s[14:15], -v[215:216]
	v_add_co_u32_e32 v0, vcc, v71, v0
	v_addc_co_u32_e32 v1, vcc, v72, v1, vcc
	global_store_dwordx4 v[0:1], v[2:5], off
	v_fma_f64 v[211:212], v[178:179], s[4:5], -v[211:212]
	v_mov_b32_e32 v2, v70
	v_mad_u64_u32 v[2:3], s[0:1], s3, v73, v[2:3]
	v_or_b32_e32 v4, 48, v184
	v_mov_b32_e32 v59, v68
	v_mov_b32_e32 v70, v2
	v_mad_u64_u32 v[2:3], s[0:1], s2, v4, 0
	v_add_f64 v[134:135], v[185:186], v[180:181]
	v_lshlrev_b64 v[0:1], 4, v[58:59]
	v_mad_u64_u32 v[3:4], s[0:1], s3, v4, v[3:4]
	v_add_co_u32_e32 v0, vcc, v71, v0
	v_addc_co_u32_e32 v1, vcc, v72, v1, vcc
	v_or_b32_e32 v58, 64, v184
	global_store_dwordx4 v[0:1], v[64:67], off
	v_lshlrev_b64 v[0:1], 4, v[69:70]
	v_mad_u64_u32 v[4:5], s[0:1], s2, v58, 0
	v_add_f64 v[219:220], v[219:220], v[54:55]
	v_add_f64 v[54:55], v[211:212], v[52:53]
	v_add_co_u32_e32 v0, vcc, v71, v0
	v_addc_co_u32_e32 v1, vcc, v72, v1, vcc
	global_store_dwordx4 v[0:1], v[134:137], off
	v_lshlrev_b64 v[0:1], 4, v[2:3]
	v_mov_b32_e32 v2, v5
	v_mad_u64_u32 v[2:3], s[0:1], s3, v58, v[2:3]
	v_add_co_u32_e32 v0, vcc, v71, v0
	v_addc_co_u32_e32 v1, vcc, v72, v1, vcc
	v_mov_b32_e32 v5, v2
	global_store_dwordx4 v[0:1], v[54:57], off
	v_lshlrev_b64 v[0:1], 4, v[4:5]
	v_or_b32_e32 v4, 0x50, v184
	v_mad_u64_u32 v[2:3], s[0:1], s2, v4, 0
	v_or_b32_e32 v54, 0x60, v184
	v_add_co_u32_e32 v0, vcc, v71, v0
	v_mad_u64_u32 v[3:4], s[0:1], s3, v4, v[3:4]
	v_mad_u64_u32 v[4:5], s[0:1], s2, v54, 0
	v_addc_co_u32_e32 v1, vcc, v72, v1, vcc
	global_store_dwordx4 v[0:1], v[46:49], off
	v_lshlrev_b64 v[0:1], 4, v[2:3]
	v_mov_b32_e32 v2, v5
	v_mad_u64_u32 v[2:3], s[0:1], s3, v54, v[2:3]
	v_add_co_u32_e32 v0, vcc, v71, v0
	v_addc_co_u32_e32 v1, vcc, v72, v1, vcc
	v_mov_b32_e32 v5, v2
	global_store_dwordx4 v[0:1], v[38:41], off
	v_lshlrev_b64 v[0:1], 4, v[4:5]
	v_or_b32_e32 v4, 0x70, v184
	v_mad_u64_u32 v[2:3], s[0:1], s2, v4, 0
	v_or_b32_e32 v38, 0x80, v184
	v_add_co_u32_e32 v0, vcc, v71, v0
	v_mad_u64_u32 v[3:4], s[0:1], s3, v4, v[3:4]
	v_mad_u64_u32 v[4:5], s[0:1], s2, v38, 0
	;; [unrolled: 16-line block ×5, first 2 shown]
	v_addc_co_u32_e32 v1, vcc, v72, v1, vcc
	global_store_dwordx4 v[0:1], v[30:33], off
	v_lshlrev_b64 v[0:1], 4, v[2:3]
	v_mov_b32_e32 v2, v5
	v_mad_u64_u32 v[2:3], s[0:1], s3, v6, v[2:3]
	v_add_co_u32_e32 v0, vcc, v71, v0
	v_addc_co_u32_e32 v1, vcc, v72, v1, vcc
	v_mov_b32_e32 v5, v2
	v_fma_f64 v[209:210], v[138:139], s[18:19], v[207:208]
	global_store_dwordx4 v[0:1], v[34:37], off
	v_lshlrev_b64 v[0:1], 4, v[4:5]
	v_or_b32_e32 v4, 0xf0, v184
	v_mad_u64_u32 v[2:3], s[0:1], s2, v4, 0
	v_or_b32_e32 v6, 0x100, v184
	v_add_co_u32_e32 v0, vcc, v71, v0
	v_mad_u64_u32 v[3:4], s[0:1], s3, v4, v[3:4]
	v_mad_u64_u32 v[4:5], s[0:1], s2, v6, 0
	v_add_f64 v[52:53], v[209:210], v[219:220]
	v_addc_co_u32_e32 v1, vcc, v72, v1, vcc
	global_store_dwordx4 v[0:1], v[42:45], off
	v_lshlrev_b64 v[0:1], 4, v[2:3]
	v_mov_b32_e32 v2, v5
	v_mad_u64_u32 v[2:3], s[0:1], s3, v6, v[2:3]
	v_add_co_u32_e32 v0, vcc, v71, v0
	v_addc_co_u32_e32 v1, vcc, v72, v1, vcc
	v_mov_b32_e32 v5, v2
	global_store_dwordx4 v[0:1], v[50:53], off
	v_lshlrev_b64 v[0:1], 4, v[4:5]
	v_add_co_u32_e32 v0, vcc, v71, v0
	v_addc_co_u32_e32 v1, vcc, v72, v1, vcc
	global_store_dwordx4 v[0:1], v[60:63], off
	s_endpgm
	.section	.rodata,"a",@progbits
	.p2align	6, 0x0
	.amdhsa_kernel fft_rtc_fwd_len272_factors_16_17_wgs_119_tpt_17_halfLds_dp_ip_CI_sbrr_dirReg
		.amdhsa_group_segment_fixed_size 0
		.amdhsa_private_segment_fixed_size 0
		.amdhsa_kernarg_size 88
		.amdhsa_user_sgpr_count 6
		.amdhsa_user_sgpr_private_segment_buffer 1
		.amdhsa_user_sgpr_dispatch_ptr 0
		.amdhsa_user_sgpr_queue_ptr 0
		.amdhsa_user_sgpr_kernarg_segment_ptr 1
		.amdhsa_user_sgpr_dispatch_id 0
		.amdhsa_user_sgpr_flat_scratch_init 0
		.amdhsa_user_sgpr_private_segment_size 0
		.amdhsa_uses_dynamic_stack 0
		.amdhsa_system_sgpr_private_segment_wavefront_offset 0
		.amdhsa_system_sgpr_workgroup_id_x 1
		.amdhsa_system_sgpr_workgroup_id_y 0
		.amdhsa_system_sgpr_workgroup_id_z 0
		.amdhsa_system_sgpr_workgroup_info 0
		.amdhsa_system_vgpr_workitem_id 0
		.amdhsa_next_free_vgpr 221
		.amdhsa_next_free_sgpr 54
		.amdhsa_reserve_vcc 1
		.amdhsa_reserve_flat_scratch 0
		.amdhsa_float_round_mode_32 0
		.amdhsa_float_round_mode_16_64 0
		.amdhsa_float_denorm_mode_32 3
		.amdhsa_float_denorm_mode_16_64 3
		.amdhsa_dx10_clamp 1
		.amdhsa_ieee_mode 1
		.amdhsa_fp16_overflow 0
		.amdhsa_exception_fp_ieee_invalid_op 0
		.amdhsa_exception_fp_denorm_src 0
		.amdhsa_exception_fp_ieee_div_zero 0
		.amdhsa_exception_fp_ieee_overflow 0
		.amdhsa_exception_fp_ieee_underflow 0
		.amdhsa_exception_fp_ieee_inexact 0
		.amdhsa_exception_int_div_zero 0
	.end_amdhsa_kernel
	.text
.Lfunc_end0:
	.size	fft_rtc_fwd_len272_factors_16_17_wgs_119_tpt_17_halfLds_dp_ip_CI_sbrr_dirReg, .Lfunc_end0-fft_rtc_fwd_len272_factors_16_17_wgs_119_tpt_17_halfLds_dp_ip_CI_sbrr_dirReg
                                        ; -- End function
	.section	.AMDGPU.csdata,"",@progbits
; Kernel info:
; codeLenInByte = 11828
; NumSgprs: 58
; NumVgprs: 221
; ScratchSize: 0
; MemoryBound: 1
; FloatMode: 240
; IeeeMode: 1
; LDSByteSize: 0 bytes/workgroup (compile time only)
; SGPRBlocks: 7
; VGPRBlocks: 55
; NumSGPRsForWavesPerEU: 58
; NumVGPRsForWavesPerEU: 221
; Occupancy: 1
; WaveLimiterHint : 1
; COMPUTE_PGM_RSRC2:SCRATCH_EN: 0
; COMPUTE_PGM_RSRC2:USER_SGPR: 6
; COMPUTE_PGM_RSRC2:TRAP_HANDLER: 0
; COMPUTE_PGM_RSRC2:TGID_X_EN: 1
; COMPUTE_PGM_RSRC2:TGID_Y_EN: 0
; COMPUTE_PGM_RSRC2:TGID_Z_EN: 0
; COMPUTE_PGM_RSRC2:TIDIG_COMP_CNT: 0
	.type	__hip_cuid_24812f73ad94cd8d,@object ; @__hip_cuid_24812f73ad94cd8d
	.section	.bss,"aw",@nobits
	.globl	__hip_cuid_24812f73ad94cd8d
__hip_cuid_24812f73ad94cd8d:
	.byte	0                               ; 0x0
	.size	__hip_cuid_24812f73ad94cd8d, 1

	.ident	"AMD clang version 19.0.0git (https://github.com/RadeonOpenCompute/llvm-project roc-6.4.0 25133 c7fe45cf4b819c5991fe208aaa96edf142730f1d)"
	.section	".note.GNU-stack","",@progbits
	.addrsig
	.addrsig_sym __hip_cuid_24812f73ad94cd8d
	.amdgpu_metadata
---
amdhsa.kernels:
  - .args:
      - .actual_access:  read_only
        .address_space:  global
        .offset:         0
        .size:           8
        .value_kind:     global_buffer
      - .offset:         8
        .size:           8
        .value_kind:     by_value
      - .actual_access:  read_only
        .address_space:  global
        .offset:         16
        .size:           8
        .value_kind:     global_buffer
      - .actual_access:  read_only
        .address_space:  global
        .offset:         24
        .size:           8
        .value_kind:     global_buffer
      - .offset:         32
        .size:           8
        .value_kind:     by_value
      - .actual_access:  read_only
        .address_space:  global
        .offset:         40
        .size:           8
        .value_kind:     global_buffer
      - .actual_access:  read_only
        .address_space:  global
        .offset:         48
        .size:           8
        .value_kind:     global_buffer
      - .offset:         56
        .size:           4
        .value_kind:     by_value
      - .actual_access:  read_only
        .address_space:  global
        .offset:         64
        .size:           8
        .value_kind:     global_buffer
      - .actual_access:  read_only
        .address_space:  global
        .offset:         72
        .size:           8
        .value_kind:     global_buffer
      - .address_space:  global
        .offset:         80
        .size:           8
        .value_kind:     global_buffer
    .group_segment_fixed_size: 0
    .kernarg_segment_align: 8
    .kernarg_segment_size: 88
    .language:       OpenCL C
    .language_version:
      - 2
      - 0
    .max_flat_workgroup_size: 119
    .name:           fft_rtc_fwd_len272_factors_16_17_wgs_119_tpt_17_halfLds_dp_ip_CI_sbrr_dirReg
    .private_segment_fixed_size: 0
    .sgpr_count:     58
    .sgpr_spill_count: 0
    .symbol:         fft_rtc_fwd_len272_factors_16_17_wgs_119_tpt_17_halfLds_dp_ip_CI_sbrr_dirReg.kd
    .uniform_work_group_size: 1
    .uses_dynamic_stack: false
    .vgpr_count:     221
    .vgpr_spill_count: 0
    .wavefront_size: 64
amdhsa.target:   amdgcn-amd-amdhsa--gfx906
amdhsa.version:
  - 1
  - 2
...

	.end_amdgpu_metadata
